;; amdgpu-corpus repo=pytorch/pytorch kind=compiled arch=gfx942 opt=O3
	.text
	.amdgcn_target "amdgcn-amd-amdhsa--gfx942"
	.amdhsa_code_object_version 6
	.section	.text._ZN2at6native12cross_kernelIh16OffsetCalculatorILi3EjLb0EElEEviPT_PKS4_S7_T0_T1_S9_S9_,"axG",@progbits,_ZN2at6native12cross_kernelIh16OffsetCalculatorILi3EjLb0EElEEviPT_PKS4_S7_T0_T1_S9_S9_,comdat
	.protected	_ZN2at6native12cross_kernelIh16OffsetCalculatorILi3EjLb0EElEEviPT_PKS4_S7_T0_T1_S9_S9_ ; -- Begin function _ZN2at6native12cross_kernelIh16OffsetCalculatorILi3EjLb0EElEEviPT_PKS4_S7_T0_T1_S9_S9_
	.globl	_ZN2at6native12cross_kernelIh16OffsetCalculatorILi3EjLb0EElEEviPT_PKS4_S7_T0_T1_S9_S9_
	.p2align	8
	.type	_ZN2at6native12cross_kernelIh16OffsetCalculatorILi3EjLb0EElEEviPT_PKS4_S7_T0_T1_S9_S9_,@function
_ZN2at6native12cross_kernelIh16OffsetCalculatorILi3EjLb0EElEEviPT_PKS4_S7_T0_T1_S9_S9_: ; @_ZN2at6native12cross_kernelIh16OffsetCalculatorILi3EjLb0EElEEviPT_PKS4_S7_T0_T1_S9_S9_
; %bb.0:
	s_load_dword s24, s[0:1], 0x0
	s_load_dword s3, s[0:1], 0x1cc
	v_mov_b32_e32 v1, 0
	v_mov_b32_e32 v2, s2
	s_waitcnt lgkmcnt(0)
	s_ashr_i32 s25, s24, 31
	s_add_u32 s20, s0, 0x1c0
	s_addc_u32 s21, s1, 0
	s_and_b32 s30, s3, 0xffff
	v_mad_u64_u32 v[2:3], s[2:3], s30, v2, v[0:1]
	v_cmp_gt_i64_e32 vcc, s[24:25], v[2:3]
	s_and_saveexec_b64 s[2:3], vcc
	s_cbranch_execz .LBB0_13
; %bb.1:
	s_load_dwordx8 s[4:11], s[0:1], 0x20
	s_load_dwordx4 s[12:15], s[0:1], 0x8
	s_load_dwordx2 s[2:3], s[0:1], 0x18
	s_load_dwordx2 s[26:27], s[0:1], 0x1b8
	s_load_dwordx4 s[16:19], s[0:1], 0x1a8
	s_load_dword s33, s[20:21], 0x0
	s_waitcnt lgkmcnt(0)
	s_add_i32 s11, s4, -1
	s_cmp_gt_u32 s11, 1
	s_cselect_b64 s[28:29], -1, 0
	s_cmp_lg_u32 s4, 0
	s_cselect_b64 s[34:35], -1, 0
	s_min_u32 s42, s11, 15
	s_load_dwordx4 s[20:23], s[0:1], 0xe4
	s_load_dwordx2 s[36:37], s[0:1], 0xf4
	s_cmp_gt_u32 s4, 1
	s_cselect_b64 s[38:39], -1, 0
	s_mov_b32 s4, s9
	s_add_i32 s9, s42, 1
	s_lshl_b64 s[40:41], s[26:27], 1
	s_and_b32 s9, s9, 30
	s_bitcmp0_b32 s42, 0
	s_cselect_b64 s[42:43], -1, 0
	s_add_u32 s0, s0, 12
	s_mov_b32 s31, 0
	s_waitcnt lgkmcnt(0)
	s_mov_b32 s11, s21
	s_mov_b32 s21, s22
	s_mul_i32 s30, s33, s30
	s_addc_u32 s1, s1, 0
	s_mov_b64 s[44:45], 0
	s_branch .LBB0_3
.LBB0_2:                                ;   in Loop: Header=BB0_3 Depth=1
	v_mov_b32_e32 v7, v1
	v_mov_b32_e32 v5, v1
	v_lshl_add_u64 v[8:9], s[14:15], 0, v[6:7]
	v_lshl_add_u64 v[10:11], s[2:3], 0, v[4:5]
	;; [unrolled: 1-line block ×4, first 2 shown]
	global_load_ubyte v14, v[8:9], off
	v_lshl_add_u64 v[8:9], v[8:9], 0, s[18:19]
	global_load_ubyte v12, v[12:13], off
	v_lshl_add_u64 v[10:11], v[10:11], 0, s[26:27]
	global_load_ubyte v13, v6, s[14:15]
	global_load_ubyte v15, v[10:11], off
	global_load_ubyte v16, v4, s[2:3]
	global_load_ubyte v17, v[8:9], off
	v_lshl_add_u64 v[2:3], v[2:3], 0, s[30:31]
	v_lshl_add_u64 v[4:5], s[12:13], 0, v[0:1]
	v_cmp_le_i64_e32 vcc, s[24:25], v[2:3]
	v_lshl_add_u64 v[4:5], v[4:5], 0, s[16:17]
	s_or_b64 s[44:45], vcc, s[44:45]
	v_lshl_add_u64 v[6:7], v[4:5], 0, s[16:17]
	s_waitcnt vmcnt(2)
	v_mul_lo_u16_e32 v10, v13, v15
	v_mul_lo_u16_e32 v8, v12, v14
	;; [unrolled: 1-line block ×3, first 2 shown]
	s_waitcnt vmcnt(0)
	v_mul_lo_u16_e32 v12, v15, v17
	v_mul_lo_u16_e32 v11, v16, v14
	;; [unrolled: 1-line block ×3, first 2 shown]
	v_sub_u16_e32 v8, v8, v12
	v_sub_u16_e32 v10, v10, v11
	;; [unrolled: 1-line block ×3, first 2 shown]
	global_store_byte v0, v8, s[12:13]
	global_store_byte v[4:5], v9, off
	global_store_byte v[6:7], v10, off
	s_andn2_b64 exec, exec, s[44:45]
	s_cbranch_execz .LBB0_13
.LBB0_3:                                ; =>This Loop Header: Depth=1
                                        ;     Child Loop BB0_6 Depth 2
	s_andn2_b64 vcc, exec, s[28:29]
	s_cbranch_vccnz .LBB0_10
; %bb.4:                                ;   in Loop: Header=BB0_3 Depth=1
	s_andn2_b64 vcc, exec, s[34:35]
	v_mov_b32_e32 v4, 0
	v_mov_b32_e32 v6, 0
	;; [unrolled: 1-line block ×3, first 2 shown]
	s_cbranch_vccnz .LBB0_9
; %bb.5:                                ;   in Loop: Header=BB0_3 Depth=1
	v_mov_b32_e32 v0, 0
	s_mov_b32 s22, s9
	s_mov_b64 s[46:47], s[0:1]
	v_mov_b32_e32 v5, v2
	v_mov_b32_e32 v6, v0
	v_mov_b32_e32 v4, v0
.LBB0_6:                                ;   Parent Loop BB0_3 Depth=1
                                        ; =>  This Inner Loop Header: Depth=2
	s_mov_b64 s[56:57], s[46:47]
	s_load_dwordx4 s[48:51], s[56:57], 0x18
	s_load_dwordx2 s[58:59], s[56:57], 0x28
	s_load_dwordx2 s[60:61], s[56:57], 0xe8
	s_load_dwordx4 s[52:55], s[56:57], 0xd8
	s_add_u32 s46, s56, 24
	s_waitcnt lgkmcnt(0)
	v_mul_hi_u32 v7, s49, v5
	v_add_u32_e32 v7, v5, v7
	v_lshrrev_b32_e32 v7, s50, v7
	v_mul_lo_u32 v8, v7, s48
	v_mul_hi_u32 v9, s58, v7
	v_sub_u32_e32 v5, v5, v8
	v_add_u32_e32 v8, v7, v9
	v_mul_lo_u32 v9, v5, s52
	v_mul_lo_u32 v10, v5, s53
	;; [unrolled: 1-line block ×3, first 2 shown]
	v_lshrrev_b32_e32 v5, s59, v8
	v_mul_lo_u32 v8, v5, s51
	v_sub_u32_e32 v7, v7, v8
	s_addc_u32 s47, s57, 0
	s_add_i32 s22, s22, -2
	v_mul_lo_u32 v8, v7, s55
	v_mul_lo_u32 v12, v7, s60
	;; [unrolled: 1-line block ×3, first 2 shown]
	s_cmp_lg_u32 s22, 0
	v_add3_u32 v0, v9, v0, v8
	v_add3_u32 v4, v11, v4, v7
	;; [unrolled: 1-line block ×3, first 2 shown]
	s_cbranch_scc1 .LBB0_6
; %bb.7:                                ;   in Loop: Header=BB0_3 Depth=1
	s_andn2_b64 vcc, exec, s[42:43]
	s_cbranch_vccnz .LBB0_9
; %bb.8:                                ;   in Loop: Header=BB0_3 Depth=1
	s_load_dwordx2 s[48:49], s[46:47], 0x18
	s_load_dword s22, s[46:47], 0x20
	s_load_dword s33, s[46:47], 0xe0
	s_nop 0
	s_load_dwordx2 s[46:47], s[46:47], 0xd8
	s_waitcnt lgkmcnt(0)
	v_mul_hi_u32 v7, s49, v5
	v_add_u32_e32 v7, v5, v7
	v_lshrrev_b32_e32 v7, s22, v7
	v_mul_lo_u32 v7, v7, s48
	v_sub_u32_e32 v5, v5, v7
	v_mad_u64_u32 v[8:9], s[48:49], v5, s46, v[0:1]
	v_mad_u64_u32 v[6:7], s[46:47], v5, s47, v[6:7]
	;; [unrolled: 1-line block ×3, first 2 shown]
	v_mov_b32_e32 v0, v8
.LBB0_9:                                ;   in Loop: Header=BB0_3 Depth=1
	s_cbranch_execnz .LBB0_2
	s_branch .LBB0_11
.LBB0_10:                               ;   in Loop: Header=BB0_3 Depth=1
                                        ; implicit-def: $vgpr4
                                        ; implicit-def: $vgpr6
.LBB0_11:                               ;   in Loop: Header=BB0_3 Depth=1
	v_mul_hi_u32 v0, v2, s6
	v_add_u32_e32 v0, v0, v2
	v_lshrrev_b32_e32 v5, s7, v0
	v_mul_lo_u32 v0, v5, s5
	v_sub_u32_e32 v6, v2, v0
	v_mul_lo_u32 v0, v6, s20
	v_mul_lo_u32 v4, v6, s21
	s_andn2_b64 vcc, exec, s[38:39]
	v_mul_lo_u32 v6, v6, s11
	s_cbranch_vccnz .LBB0_2
; %bb.12:                               ;   in Loop: Header=BB0_3 Depth=1
	v_mul_hi_u32 v7, s4, v5
	v_add_u32_e32 v7, v5, v7
	v_lshrrev_b32_e32 v7, s10, v7
	v_mul_lo_u32 v7, v7, s8
	v_sub_u32_e32 v5, v5, v7
	v_mad_u64_u32 v[8:9], s[46:47], v5, s23, v[0:1]
	v_mad_u64_u32 v[6:7], s[46:47], v5, s36, v[6:7]
	;; [unrolled: 1-line block ×3, first 2 shown]
	v_mov_b32_e32 v0, v8
	s_branch .LBB0_2
.LBB0_13:
	s_endpgm
	.section	.rodata,"a",@progbits
	.p2align	6, 0x0
	.amdhsa_kernel _ZN2at6native12cross_kernelIh16OffsetCalculatorILi3EjLb0EElEEviPT_PKS4_S7_T0_T1_S9_S9_
		.amdhsa_group_segment_fixed_size 0
		.amdhsa_private_segment_fixed_size 0
		.amdhsa_kernarg_size 704
		.amdhsa_user_sgpr_count 2
		.amdhsa_user_sgpr_dispatch_ptr 0
		.amdhsa_user_sgpr_queue_ptr 0
		.amdhsa_user_sgpr_kernarg_segment_ptr 1
		.amdhsa_user_sgpr_dispatch_id 0
		.amdhsa_user_sgpr_kernarg_preload_length 0
		.amdhsa_user_sgpr_kernarg_preload_offset 0
		.amdhsa_user_sgpr_private_segment_size 0
		.amdhsa_uses_dynamic_stack 0
		.amdhsa_enable_private_segment 0
		.amdhsa_system_sgpr_workgroup_id_x 1
		.amdhsa_system_sgpr_workgroup_id_y 0
		.amdhsa_system_sgpr_workgroup_id_z 0
		.amdhsa_system_sgpr_workgroup_info 0
		.amdhsa_system_vgpr_workitem_id 0
		.amdhsa_next_free_vgpr 18
		.amdhsa_next_free_sgpr 62
		.amdhsa_accum_offset 20
		.amdhsa_reserve_vcc 1
		.amdhsa_float_round_mode_32 0
		.amdhsa_float_round_mode_16_64 0
		.amdhsa_float_denorm_mode_32 3
		.amdhsa_float_denorm_mode_16_64 3
		.amdhsa_dx10_clamp 1
		.amdhsa_ieee_mode 1
		.amdhsa_fp16_overflow 0
		.amdhsa_tg_split 0
		.amdhsa_exception_fp_ieee_invalid_op 0
		.amdhsa_exception_fp_denorm_src 0
		.amdhsa_exception_fp_ieee_div_zero 0
		.amdhsa_exception_fp_ieee_overflow 0
		.amdhsa_exception_fp_ieee_underflow 0
		.amdhsa_exception_fp_ieee_inexact 0
		.amdhsa_exception_int_div_zero 0
	.end_amdhsa_kernel
	.section	.text._ZN2at6native12cross_kernelIh16OffsetCalculatorILi3EjLb0EElEEviPT_PKS4_S7_T0_T1_S9_S9_,"axG",@progbits,_ZN2at6native12cross_kernelIh16OffsetCalculatorILi3EjLb0EElEEviPT_PKS4_S7_T0_T1_S9_S9_,comdat
.Lfunc_end0:
	.size	_ZN2at6native12cross_kernelIh16OffsetCalculatorILi3EjLb0EElEEviPT_PKS4_S7_T0_T1_S9_S9_, .Lfunc_end0-_ZN2at6native12cross_kernelIh16OffsetCalculatorILi3EjLb0EElEEviPT_PKS4_S7_T0_T1_S9_S9_
                                        ; -- End function
	.section	.AMDGPU.csdata,"",@progbits
; Kernel info:
; codeLenInByte = 928
; NumSgprs: 68
; NumVgprs: 18
; NumAgprs: 0
; TotalNumVgprs: 18
; ScratchSize: 0
; MemoryBound: 0
; FloatMode: 240
; IeeeMode: 1
; LDSByteSize: 0 bytes/workgroup (compile time only)
; SGPRBlocks: 8
; VGPRBlocks: 2
; NumSGPRsForWavesPerEU: 68
; NumVGPRsForWavesPerEU: 18
; AccumOffset: 20
; Occupancy: 8
; WaveLimiterHint : 1
; COMPUTE_PGM_RSRC2:SCRATCH_EN: 0
; COMPUTE_PGM_RSRC2:USER_SGPR: 2
; COMPUTE_PGM_RSRC2:TRAP_HANDLER: 0
; COMPUTE_PGM_RSRC2:TGID_X_EN: 1
; COMPUTE_PGM_RSRC2:TGID_Y_EN: 0
; COMPUTE_PGM_RSRC2:TGID_Z_EN: 0
; COMPUTE_PGM_RSRC2:TIDIG_COMP_CNT: 0
; COMPUTE_PGM_RSRC3_GFX90A:ACCUM_OFFSET: 4
; COMPUTE_PGM_RSRC3_GFX90A:TG_SPLIT: 0
	.section	.text._ZN2at6native12cross_kernelIh16OffsetCalculatorILi3EjLb0EEiEEviPT_PKS4_S7_T0_T1_S9_S9_,"axG",@progbits,_ZN2at6native12cross_kernelIh16OffsetCalculatorILi3EjLb0EEiEEviPT_PKS4_S7_T0_T1_S9_S9_,comdat
	.protected	_ZN2at6native12cross_kernelIh16OffsetCalculatorILi3EjLb0EEiEEviPT_PKS4_S7_T0_T1_S9_S9_ ; -- Begin function _ZN2at6native12cross_kernelIh16OffsetCalculatorILi3EjLb0EEiEEviPT_PKS4_S7_T0_T1_S9_S9_
	.globl	_ZN2at6native12cross_kernelIh16OffsetCalculatorILi3EjLb0EEiEEviPT_PKS4_S7_T0_T1_S9_S9_
	.p2align	8
	.type	_ZN2at6native12cross_kernelIh16OffsetCalculatorILi3EjLb0EEiEEviPT_PKS4_S7_T0_T1_S9_S9_,@function
_ZN2at6native12cross_kernelIh16OffsetCalculatorILi3EjLb0EEiEEviPT_PKS4_S7_T0_T1_S9_S9_: ; @_ZN2at6native12cross_kernelIh16OffsetCalculatorILi3EjLb0EEiEEviPT_PKS4_S7_T0_T1_S9_S9_
; %bb.0:
	s_load_dword s24, s[0:1], 0x0
	s_load_dword s3, s[0:1], 0x1bc
	v_mov_b32_e32 v1, 0
	v_mov_b32_e32 v2, s2
	s_waitcnt lgkmcnt(0)
	s_ashr_i32 s25, s24, 31
	s_add_u32 s20, s0, 0x1b0
	s_addc_u32 s21, s1, 0
	s_and_b32 s30, s3, 0xffff
	v_mad_u64_u32 v[2:3], s[2:3], s30, v2, v[0:1]
	v_cmp_gt_i64_e32 vcc, s[24:25], v[2:3]
	s_and_saveexec_b64 s[2:3], vcc
	s_cbranch_execz .LBB1_13
; %bb.1:
	s_load_dwordx4 s[12:15], s[0:1], 0x1a4
	s_load_dwordx8 s[4:11], s[0:1], 0x20
	s_load_dwordx4 s[16:19], s[0:1], 0x8
	s_load_dwordx2 s[2:3], s[0:1], 0x18
	s_load_dword s33, s[20:21], 0x0
	s_load_dwordx2 s[36:37], s[0:1], 0xf4
	s_waitcnt lgkmcnt(0)
	s_add_i32 s11, s4, -1
	s_cmp_gt_u32 s11, 1
	s_cselect_b64 s[28:29], -1, 0
	s_cmp_lg_u32 s4, 0
	s_cselect_b64 s[34:35], -1, 0
	s_min_u32 s42, s11, 15
	s_load_dwordx4 s[20:23], s[0:1], 0xe4
	s_cmp_gt_u32 s4, 1
	s_cselect_b64 s[38:39], -1, 0
	s_mov_b32 s4, s9
	s_lshl_b32 s40, s14, 1
	s_add_i32 s9, s42, 1
	s_mov_b32 s26, s13
	s_ashr_i32 s27, s13, 31
	s_ashr_i32 s41, s40, 31
	;; [unrolled: 1-line block ×4, first 2 shown]
	s_and_b32 s9, s9, 30
	s_bitcmp0_b32 s42, 0
	s_cselect_b64 s[42:43], -1, 0
	s_add_u32 s0, s0, 12
	s_mov_b32 s31, 0
	s_waitcnt lgkmcnt(0)
	s_mov_b32 s11, s21
	s_mov_b32 s21, s22
	s_mul_i32 s30, s33, s30
	s_addc_u32 s1, s1, 0
	s_mov_b64 s[44:45], 0
	s_branch .LBB1_3
.LBB1_2:                                ;   in Loop: Header=BB1_3 Depth=1
	v_mov_b32_e32 v7, v1
	v_mov_b32_e32 v5, v1
	v_lshl_add_u64 v[8:9], s[18:19], 0, v[6:7]
	v_lshl_add_u64 v[10:11], s[2:3], 0, v[4:5]
	;; [unrolled: 1-line block ×4, first 2 shown]
	global_load_ubyte v14, v[8:9], off
	v_lshl_add_u64 v[8:9], v[8:9], 0, s[26:27]
	global_load_ubyte v12, v[12:13], off
	v_lshl_add_u64 v[10:11], v[10:11], 0, s[14:15]
	global_load_ubyte v13, v6, s[18:19]
	global_load_ubyte v15, v[10:11], off
	global_load_ubyte v16, v4, s[2:3]
	global_load_ubyte v17, v[8:9], off
	v_lshl_add_u64 v[2:3], v[2:3], 0, s[30:31]
	v_lshl_add_u64 v[4:5], s[16:17], 0, v[0:1]
	v_cmp_le_i64_e32 vcc, s[24:25], v[2:3]
	v_lshl_add_u64 v[4:5], v[4:5], 0, s[12:13]
	s_or_b64 s[44:45], vcc, s[44:45]
	v_lshl_add_u64 v[6:7], v[4:5], 0, s[12:13]
	s_waitcnt vmcnt(2)
	v_mul_lo_u16_e32 v10, v13, v15
	v_mul_lo_u16_e32 v8, v12, v14
	;; [unrolled: 1-line block ×3, first 2 shown]
	s_waitcnt vmcnt(0)
	v_mul_lo_u16_e32 v12, v15, v17
	v_mul_lo_u16_e32 v11, v16, v14
	;; [unrolled: 1-line block ×3, first 2 shown]
	v_sub_u16_e32 v8, v8, v12
	v_sub_u16_e32 v10, v10, v11
	v_sub_u16_e32 v9, v13, v9
	global_store_byte v0, v8, s[16:17]
	global_store_byte v[4:5], v9, off
	global_store_byte v[6:7], v10, off
	s_andn2_b64 exec, exec, s[44:45]
	s_cbranch_execz .LBB1_13
.LBB1_3:                                ; =>This Loop Header: Depth=1
                                        ;     Child Loop BB1_6 Depth 2
	s_andn2_b64 vcc, exec, s[28:29]
	s_cbranch_vccnz .LBB1_10
; %bb.4:                                ;   in Loop: Header=BB1_3 Depth=1
	s_andn2_b64 vcc, exec, s[34:35]
	v_mov_b32_e32 v4, 0
	v_mov_b32_e32 v6, 0
	;; [unrolled: 1-line block ×3, first 2 shown]
	s_cbranch_vccnz .LBB1_9
; %bb.5:                                ;   in Loop: Header=BB1_3 Depth=1
	v_mov_b32_e32 v0, 0
	s_mov_b32 s22, s9
	s_mov_b64 s[46:47], s[0:1]
	v_mov_b32_e32 v5, v2
	v_mov_b32_e32 v6, v0
	;; [unrolled: 1-line block ×3, first 2 shown]
.LBB1_6:                                ;   Parent Loop BB1_3 Depth=1
                                        ; =>  This Inner Loop Header: Depth=2
	s_mov_b64 s[56:57], s[46:47]
	s_load_dwordx4 s[48:51], s[56:57], 0x18
	s_load_dwordx2 s[58:59], s[56:57], 0x28
	s_load_dwordx2 s[60:61], s[56:57], 0xe8
	s_load_dwordx4 s[52:55], s[56:57], 0xd8
	s_add_u32 s46, s56, 24
	s_waitcnt lgkmcnt(0)
	v_mul_hi_u32 v7, s49, v5
	v_add_u32_e32 v7, v5, v7
	v_lshrrev_b32_e32 v7, s50, v7
	v_mul_lo_u32 v8, v7, s48
	v_mul_hi_u32 v9, s58, v7
	v_sub_u32_e32 v5, v5, v8
	v_add_u32_e32 v8, v7, v9
	v_mul_lo_u32 v9, v5, s52
	v_mul_lo_u32 v10, v5, s53
	;; [unrolled: 1-line block ×3, first 2 shown]
	v_lshrrev_b32_e32 v5, s59, v8
	v_mul_lo_u32 v8, v5, s51
	v_sub_u32_e32 v7, v7, v8
	s_addc_u32 s47, s57, 0
	s_add_i32 s22, s22, -2
	v_mul_lo_u32 v8, v7, s55
	v_mul_lo_u32 v12, v7, s60
	;; [unrolled: 1-line block ×3, first 2 shown]
	s_cmp_lg_u32 s22, 0
	v_add3_u32 v0, v9, v0, v8
	v_add3_u32 v4, v11, v4, v7
	;; [unrolled: 1-line block ×3, first 2 shown]
	s_cbranch_scc1 .LBB1_6
; %bb.7:                                ;   in Loop: Header=BB1_3 Depth=1
	s_andn2_b64 vcc, exec, s[42:43]
	s_cbranch_vccnz .LBB1_9
; %bb.8:                                ;   in Loop: Header=BB1_3 Depth=1
	s_load_dwordx2 s[48:49], s[46:47], 0x18
	s_load_dword s22, s[46:47], 0x20
	s_load_dword s33, s[46:47], 0xe0
	s_nop 0
	s_load_dwordx2 s[46:47], s[46:47], 0xd8
	s_waitcnt lgkmcnt(0)
	v_mul_hi_u32 v7, s49, v5
	v_add_u32_e32 v7, v5, v7
	v_lshrrev_b32_e32 v7, s22, v7
	v_mul_lo_u32 v7, v7, s48
	v_sub_u32_e32 v5, v5, v7
	v_mad_u64_u32 v[8:9], s[48:49], v5, s46, v[0:1]
	v_mad_u64_u32 v[6:7], s[46:47], v5, s47, v[6:7]
	;; [unrolled: 1-line block ×3, first 2 shown]
	v_mov_b32_e32 v0, v8
.LBB1_9:                                ;   in Loop: Header=BB1_3 Depth=1
	s_cbranch_execnz .LBB1_2
	s_branch .LBB1_11
.LBB1_10:                               ;   in Loop: Header=BB1_3 Depth=1
                                        ; implicit-def: $vgpr4
                                        ; implicit-def: $vgpr6
.LBB1_11:                               ;   in Loop: Header=BB1_3 Depth=1
	v_mul_hi_u32 v0, v2, s6
	v_add_u32_e32 v0, v0, v2
	v_lshrrev_b32_e32 v5, s7, v0
	v_mul_lo_u32 v0, v5, s5
	v_sub_u32_e32 v6, v2, v0
	v_mul_lo_u32 v0, v6, s20
	v_mul_lo_u32 v4, v6, s21
	s_andn2_b64 vcc, exec, s[38:39]
	v_mul_lo_u32 v6, v6, s11
	s_cbranch_vccnz .LBB1_2
; %bb.12:                               ;   in Loop: Header=BB1_3 Depth=1
	v_mul_hi_u32 v7, s4, v5
	v_add_u32_e32 v7, v5, v7
	v_lshrrev_b32_e32 v7, s10, v7
	v_mul_lo_u32 v7, v7, s8
	v_sub_u32_e32 v5, v5, v7
	v_mad_u64_u32 v[8:9], s[46:47], v5, s23, v[0:1]
	v_mad_u64_u32 v[6:7], s[46:47], v5, s36, v[6:7]
	;; [unrolled: 1-line block ×3, first 2 shown]
	v_mov_b32_e32 v0, v8
	s_branch .LBB1_2
.LBB1_13:
	s_endpgm
	.section	.rodata,"a",@progbits
	.p2align	6, 0x0
	.amdhsa_kernel _ZN2at6native12cross_kernelIh16OffsetCalculatorILi3EjLb0EEiEEviPT_PKS4_S7_T0_T1_S9_S9_
		.amdhsa_group_segment_fixed_size 0
		.amdhsa_private_segment_fixed_size 0
		.amdhsa_kernarg_size 688
		.amdhsa_user_sgpr_count 2
		.amdhsa_user_sgpr_dispatch_ptr 0
		.amdhsa_user_sgpr_queue_ptr 0
		.amdhsa_user_sgpr_kernarg_segment_ptr 1
		.amdhsa_user_sgpr_dispatch_id 0
		.amdhsa_user_sgpr_kernarg_preload_length 0
		.amdhsa_user_sgpr_kernarg_preload_offset 0
		.amdhsa_user_sgpr_private_segment_size 0
		.amdhsa_uses_dynamic_stack 0
		.amdhsa_enable_private_segment 0
		.amdhsa_system_sgpr_workgroup_id_x 1
		.amdhsa_system_sgpr_workgroup_id_y 0
		.amdhsa_system_sgpr_workgroup_id_z 0
		.amdhsa_system_sgpr_workgroup_info 0
		.amdhsa_system_vgpr_workitem_id 0
		.amdhsa_next_free_vgpr 18
		.amdhsa_next_free_sgpr 62
		.amdhsa_accum_offset 20
		.amdhsa_reserve_vcc 1
		.amdhsa_float_round_mode_32 0
		.amdhsa_float_round_mode_16_64 0
		.amdhsa_float_denorm_mode_32 3
		.amdhsa_float_denorm_mode_16_64 3
		.amdhsa_dx10_clamp 1
		.amdhsa_ieee_mode 1
		.amdhsa_fp16_overflow 0
		.amdhsa_tg_split 0
		.amdhsa_exception_fp_ieee_invalid_op 0
		.amdhsa_exception_fp_denorm_src 0
		.amdhsa_exception_fp_ieee_div_zero 0
		.amdhsa_exception_fp_ieee_overflow 0
		.amdhsa_exception_fp_ieee_underflow 0
		.amdhsa_exception_fp_ieee_inexact 0
		.amdhsa_exception_int_div_zero 0
	.end_amdhsa_kernel
	.section	.text._ZN2at6native12cross_kernelIh16OffsetCalculatorILi3EjLb0EEiEEviPT_PKS4_S7_T0_T1_S9_S9_,"axG",@progbits,_ZN2at6native12cross_kernelIh16OffsetCalculatorILi3EjLb0EEiEEviPT_PKS4_S7_T0_T1_S9_S9_,comdat
.Lfunc_end1:
	.size	_ZN2at6native12cross_kernelIh16OffsetCalculatorILi3EjLb0EEiEEviPT_PKS4_S7_T0_T1_S9_S9_, .Lfunc_end1-_ZN2at6native12cross_kernelIh16OffsetCalculatorILi3EjLb0EEiEEviPT_PKS4_S7_T0_T1_S9_S9_
                                        ; -- End function
	.section	.AMDGPU.csdata,"",@progbits
; Kernel info:
; codeLenInByte = 940
; NumSgprs: 68
; NumVgprs: 18
; NumAgprs: 0
; TotalNumVgprs: 18
; ScratchSize: 0
; MemoryBound: 0
; FloatMode: 240
; IeeeMode: 1
; LDSByteSize: 0 bytes/workgroup (compile time only)
; SGPRBlocks: 8
; VGPRBlocks: 2
; NumSGPRsForWavesPerEU: 68
; NumVGPRsForWavesPerEU: 18
; AccumOffset: 20
; Occupancy: 8
; WaveLimiterHint : 1
; COMPUTE_PGM_RSRC2:SCRATCH_EN: 0
; COMPUTE_PGM_RSRC2:USER_SGPR: 2
; COMPUTE_PGM_RSRC2:TRAP_HANDLER: 0
; COMPUTE_PGM_RSRC2:TGID_X_EN: 1
; COMPUTE_PGM_RSRC2:TGID_Y_EN: 0
; COMPUTE_PGM_RSRC2:TGID_Z_EN: 0
; COMPUTE_PGM_RSRC2:TIDIG_COMP_CNT: 0
; COMPUTE_PGM_RSRC3_GFX90A:ACCUM_OFFSET: 4
; COMPUTE_PGM_RSRC3_GFX90A:TG_SPLIT: 0
	.section	.text._ZN2at6native12cross_kernelIa16OffsetCalculatorILi3EjLb0EElEEviPT_PKS4_S7_T0_T1_S9_S9_,"axG",@progbits,_ZN2at6native12cross_kernelIa16OffsetCalculatorILi3EjLb0EElEEviPT_PKS4_S7_T0_T1_S9_S9_,comdat
	.protected	_ZN2at6native12cross_kernelIa16OffsetCalculatorILi3EjLb0EElEEviPT_PKS4_S7_T0_T1_S9_S9_ ; -- Begin function _ZN2at6native12cross_kernelIa16OffsetCalculatorILi3EjLb0EElEEviPT_PKS4_S7_T0_T1_S9_S9_
	.globl	_ZN2at6native12cross_kernelIa16OffsetCalculatorILi3EjLb0EElEEviPT_PKS4_S7_T0_T1_S9_S9_
	.p2align	8
	.type	_ZN2at6native12cross_kernelIa16OffsetCalculatorILi3EjLb0EElEEviPT_PKS4_S7_T0_T1_S9_S9_,@function
_ZN2at6native12cross_kernelIa16OffsetCalculatorILi3EjLb0EElEEviPT_PKS4_S7_T0_T1_S9_S9_: ; @_ZN2at6native12cross_kernelIa16OffsetCalculatorILi3EjLb0EElEEviPT_PKS4_S7_T0_T1_S9_S9_
; %bb.0:
	s_load_dword s24, s[0:1], 0x0
	s_load_dword s3, s[0:1], 0x1cc
	v_mov_b32_e32 v1, 0
	v_mov_b32_e32 v2, s2
	s_waitcnt lgkmcnt(0)
	s_ashr_i32 s25, s24, 31
	s_add_u32 s20, s0, 0x1c0
	s_addc_u32 s21, s1, 0
	s_and_b32 s30, s3, 0xffff
	v_mad_u64_u32 v[2:3], s[2:3], s30, v2, v[0:1]
	v_cmp_gt_i64_e32 vcc, s[24:25], v[2:3]
	s_and_saveexec_b64 s[2:3], vcc
	s_cbranch_execz .LBB2_13
; %bb.1:
	s_load_dwordx8 s[4:11], s[0:1], 0x20
	s_load_dwordx4 s[12:15], s[0:1], 0x8
	s_load_dwordx2 s[2:3], s[0:1], 0x18
	s_load_dwordx2 s[26:27], s[0:1], 0x1b8
	s_load_dwordx4 s[16:19], s[0:1], 0x1a8
	s_load_dword s33, s[20:21], 0x0
	s_waitcnt lgkmcnt(0)
	s_add_i32 s11, s4, -1
	s_cmp_gt_u32 s11, 1
	s_cselect_b64 s[28:29], -1, 0
	s_cmp_lg_u32 s4, 0
	s_cselect_b64 s[34:35], -1, 0
	s_min_u32 s42, s11, 15
	s_load_dwordx4 s[20:23], s[0:1], 0xe4
	s_load_dwordx2 s[36:37], s[0:1], 0xf4
	s_cmp_gt_u32 s4, 1
	s_cselect_b64 s[38:39], -1, 0
	s_mov_b32 s4, s9
	s_add_i32 s9, s42, 1
	s_lshl_b64 s[40:41], s[26:27], 1
	s_and_b32 s9, s9, 30
	s_bitcmp0_b32 s42, 0
	s_cselect_b64 s[42:43], -1, 0
	s_add_u32 s0, s0, 12
	s_mov_b32 s31, 0
	s_waitcnt lgkmcnt(0)
	s_mov_b32 s11, s21
	s_mov_b32 s21, s22
	s_mul_i32 s30, s33, s30
	s_addc_u32 s1, s1, 0
	s_mov_b64 s[44:45], 0
	s_branch .LBB2_3
.LBB2_2:                                ;   in Loop: Header=BB2_3 Depth=1
	v_mov_b32_e32 v7, v1
	v_mov_b32_e32 v5, v1
	v_lshl_add_u64 v[8:9], s[14:15], 0, v[6:7]
	v_lshl_add_u64 v[10:11], s[2:3], 0, v[4:5]
	;; [unrolled: 1-line block ×4, first 2 shown]
	global_load_ubyte v14, v[8:9], off
	v_lshl_add_u64 v[8:9], v[8:9], 0, s[18:19]
	global_load_ubyte v12, v[12:13], off
	v_lshl_add_u64 v[10:11], v[10:11], 0, s[26:27]
	global_load_ubyte v13, v6, s[14:15]
	global_load_ubyte v15, v[10:11], off
	global_load_ubyte v16, v4, s[2:3]
	global_load_ubyte v17, v[8:9], off
	v_lshl_add_u64 v[2:3], v[2:3], 0, s[30:31]
	v_lshl_add_u64 v[4:5], s[12:13], 0, v[0:1]
	v_cmp_le_i64_e32 vcc, s[24:25], v[2:3]
	v_lshl_add_u64 v[4:5], v[4:5], 0, s[16:17]
	s_or_b64 s[44:45], vcc, s[44:45]
	v_lshl_add_u64 v[6:7], v[4:5], 0, s[16:17]
	s_waitcnt vmcnt(2)
	v_mul_lo_u16_e32 v10, v13, v15
	v_mul_lo_u16_e32 v8, v12, v14
	;; [unrolled: 1-line block ×3, first 2 shown]
	s_waitcnt vmcnt(0)
	v_mul_lo_u16_e32 v12, v15, v17
	v_mul_lo_u16_e32 v11, v16, v14
	;; [unrolled: 1-line block ×3, first 2 shown]
	v_sub_u16_e32 v8, v8, v12
	v_sub_u16_e32 v10, v10, v11
	;; [unrolled: 1-line block ×3, first 2 shown]
	global_store_byte v0, v8, s[12:13]
	global_store_byte v[4:5], v9, off
	global_store_byte v[6:7], v10, off
	s_andn2_b64 exec, exec, s[44:45]
	s_cbranch_execz .LBB2_13
.LBB2_3:                                ; =>This Loop Header: Depth=1
                                        ;     Child Loop BB2_6 Depth 2
	s_andn2_b64 vcc, exec, s[28:29]
	s_cbranch_vccnz .LBB2_10
; %bb.4:                                ;   in Loop: Header=BB2_3 Depth=1
	s_andn2_b64 vcc, exec, s[34:35]
	v_mov_b32_e32 v4, 0
	v_mov_b32_e32 v6, 0
	;; [unrolled: 1-line block ×3, first 2 shown]
	s_cbranch_vccnz .LBB2_9
; %bb.5:                                ;   in Loop: Header=BB2_3 Depth=1
	v_mov_b32_e32 v0, 0
	s_mov_b32 s22, s9
	s_mov_b64 s[46:47], s[0:1]
	v_mov_b32_e32 v5, v2
	v_mov_b32_e32 v6, v0
	;; [unrolled: 1-line block ×3, first 2 shown]
.LBB2_6:                                ;   Parent Loop BB2_3 Depth=1
                                        ; =>  This Inner Loop Header: Depth=2
	s_mov_b64 s[56:57], s[46:47]
	s_load_dwordx4 s[48:51], s[56:57], 0x18
	s_load_dwordx2 s[58:59], s[56:57], 0x28
	s_load_dwordx2 s[60:61], s[56:57], 0xe8
	s_load_dwordx4 s[52:55], s[56:57], 0xd8
	s_add_u32 s46, s56, 24
	s_waitcnt lgkmcnt(0)
	v_mul_hi_u32 v7, s49, v5
	v_add_u32_e32 v7, v5, v7
	v_lshrrev_b32_e32 v7, s50, v7
	v_mul_lo_u32 v8, v7, s48
	v_mul_hi_u32 v9, s58, v7
	v_sub_u32_e32 v5, v5, v8
	v_add_u32_e32 v8, v7, v9
	v_mul_lo_u32 v9, v5, s52
	v_mul_lo_u32 v10, v5, s53
	;; [unrolled: 1-line block ×3, first 2 shown]
	v_lshrrev_b32_e32 v5, s59, v8
	v_mul_lo_u32 v8, v5, s51
	v_sub_u32_e32 v7, v7, v8
	s_addc_u32 s47, s57, 0
	s_add_i32 s22, s22, -2
	v_mul_lo_u32 v8, v7, s55
	v_mul_lo_u32 v12, v7, s60
	;; [unrolled: 1-line block ×3, first 2 shown]
	s_cmp_lg_u32 s22, 0
	v_add3_u32 v0, v9, v0, v8
	v_add3_u32 v4, v11, v4, v7
	;; [unrolled: 1-line block ×3, first 2 shown]
	s_cbranch_scc1 .LBB2_6
; %bb.7:                                ;   in Loop: Header=BB2_3 Depth=1
	s_andn2_b64 vcc, exec, s[42:43]
	s_cbranch_vccnz .LBB2_9
; %bb.8:                                ;   in Loop: Header=BB2_3 Depth=1
	s_load_dwordx2 s[48:49], s[46:47], 0x18
	s_load_dword s22, s[46:47], 0x20
	s_load_dword s33, s[46:47], 0xe0
	s_nop 0
	s_load_dwordx2 s[46:47], s[46:47], 0xd8
	s_waitcnt lgkmcnt(0)
	v_mul_hi_u32 v7, s49, v5
	v_add_u32_e32 v7, v5, v7
	v_lshrrev_b32_e32 v7, s22, v7
	v_mul_lo_u32 v7, v7, s48
	v_sub_u32_e32 v5, v5, v7
	v_mad_u64_u32 v[8:9], s[48:49], v5, s46, v[0:1]
	v_mad_u64_u32 v[6:7], s[46:47], v5, s47, v[6:7]
	;; [unrolled: 1-line block ×3, first 2 shown]
	v_mov_b32_e32 v0, v8
.LBB2_9:                                ;   in Loop: Header=BB2_3 Depth=1
	s_cbranch_execnz .LBB2_2
	s_branch .LBB2_11
.LBB2_10:                               ;   in Loop: Header=BB2_3 Depth=1
                                        ; implicit-def: $vgpr4
                                        ; implicit-def: $vgpr6
.LBB2_11:                               ;   in Loop: Header=BB2_3 Depth=1
	v_mul_hi_u32 v0, v2, s6
	v_add_u32_e32 v0, v0, v2
	v_lshrrev_b32_e32 v5, s7, v0
	v_mul_lo_u32 v0, v5, s5
	v_sub_u32_e32 v6, v2, v0
	v_mul_lo_u32 v0, v6, s20
	v_mul_lo_u32 v4, v6, s21
	s_andn2_b64 vcc, exec, s[38:39]
	v_mul_lo_u32 v6, v6, s11
	s_cbranch_vccnz .LBB2_2
; %bb.12:                               ;   in Loop: Header=BB2_3 Depth=1
	v_mul_hi_u32 v7, s4, v5
	v_add_u32_e32 v7, v5, v7
	v_lshrrev_b32_e32 v7, s10, v7
	v_mul_lo_u32 v7, v7, s8
	v_sub_u32_e32 v5, v5, v7
	v_mad_u64_u32 v[8:9], s[46:47], v5, s23, v[0:1]
	v_mad_u64_u32 v[6:7], s[46:47], v5, s36, v[6:7]
	;; [unrolled: 1-line block ×3, first 2 shown]
	v_mov_b32_e32 v0, v8
	s_branch .LBB2_2
.LBB2_13:
	s_endpgm
	.section	.rodata,"a",@progbits
	.p2align	6, 0x0
	.amdhsa_kernel _ZN2at6native12cross_kernelIa16OffsetCalculatorILi3EjLb0EElEEviPT_PKS4_S7_T0_T1_S9_S9_
		.amdhsa_group_segment_fixed_size 0
		.amdhsa_private_segment_fixed_size 0
		.amdhsa_kernarg_size 704
		.amdhsa_user_sgpr_count 2
		.amdhsa_user_sgpr_dispatch_ptr 0
		.amdhsa_user_sgpr_queue_ptr 0
		.amdhsa_user_sgpr_kernarg_segment_ptr 1
		.amdhsa_user_sgpr_dispatch_id 0
		.amdhsa_user_sgpr_kernarg_preload_length 0
		.amdhsa_user_sgpr_kernarg_preload_offset 0
		.amdhsa_user_sgpr_private_segment_size 0
		.amdhsa_uses_dynamic_stack 0
		.amdhsa_enable_private_segment 0
		.amdhsa_system_sgpr_workgroup_id_x 1
		.amdhsa_system_sgpr_workgroup_id_y 0
		.amdhsa_system_sgpr_workgroup_id_z 0
		.amdhsa_system_sgpr_workgroup_info 0
		.amdhsa_system_vgpr_workitem_id 0
		.amdhsa_next_free_vgpr 18
		.amdhsa_next_free_sgpr 62
		.amdhsa_accum_offset 20
		.amdhsa_reserve_vcc 1
		.amdhsa_float_round_mode_32 0
		.amdhsa_float_round_mode_16_64 0
		.amdhsa_float_denorm_mode_32 3
		.amdhsa_float_denorm_mode_16_64 3
		.amdhsa_dx10_clamp 1
		.amdhsa_ieee_mode 1
		.amdhsa_fp16_overflow 0
		.amdhsa_tg_split 0
		.amdhsa_exception_fp_ieee_invalid_op 0
		.amdhsa_exception_fp_denorm_src 0
		.amdhsa_exception_fp_ieee_div_zero 0
		.amdhsa_exception_fp_ieee_overflow 0
		.amdhsa_exception_fp_ieee_underflow 0
		.amdhsa_exception_fp_ieee_inexact 0
		.amdhsa_exception_int_div_zero 0
	.end_amdhsa_kernel
	.section	.text._ZN2at6native12cross_kernelIa16OffsetCalculatorILi3EjLb0EElEEviPT_PKS4_S7_T0_T1_S9_S9_,"axG",@progbits,_ZN2at6native12cross_kernelIa16OffsetCalculatorILi3EjLb0EElEEviPT_PKS4_S7_T0_T1_S9_S9_,comdat
.Lfunc_end2:
	.size	_ZN2at6native12cross_kernelIa16OffsetCalculatorILi3EjLb0EElEEviPT_PKS4_S7_T0_T1_S9_S9_, .Lfunc_end2-_ZN2at6native12cross_kernelIa16OffsetCalculatorILi3EjLb0EElEEviPT_PKS4_S7_T0_T1_S9_S9_
                                        ; -- End function
	.section	.AMDGPU.csdata,"",@progbits
; Kernel info:
; codeLenInByte = 928
; NumSgprs: 68
; NumVgprs: 18
; NumAgprs: 0
; TotalNumVgprs: 18
; ScratchSize: 0
; MemoryBound: 0
; FloatMode: 240
; IeeeMode: 1
; LDSByteSize: 0 bytes/workgroup (compile time only)
; SGPRBlocks: 8
; VGPRBlocks: 2
; NumSGPRsForWavesPerEU: 68
; NumVGPRsForWavesPerEU: 18
; AccumOffset: 20
; Occupancy: 8
; WaveLimiterHint : 1
; COMPUTE_PGM_RSRC2:SCRATCH_EN: 0
; COMPUTE_PGM_RSRC2:USER_SGPR: 2
; COMPUTE_PGM_RSRC2:TRAP_HANDLER: 0
; COMPUTE_PGM_RSRC2:TGID_X_EN: 1
; COMPUTE_PGM_RSRC2:TGID_Y_EN: 0
; COMPUTE_PGM_RSRC2:TGID_Z_EN: 0
; COMPUTE_PGM_RSRC2:TIDIG_COMP_CNT: 0
; COMPUTE_PGM_RSRC3_GFX90A:ACCUM_OFFSET: 4
; COMPUTE_PGM_RSRC3_GFX90A:TG_SPLIT: 0
	.section	.text._ZN2at6native12cross_kernelIa16OffsetCalculatorILi3EjLb0EEiEEviPT_PKS4_S7_T0_T1_S9_S9_,"axG",@progbits,_ZN2at6native12cross_kernelIa16OffsetCalculatorILi3EjLb0EEiEEviPT_PKS4_S7_T0_T1_S9_S9_,comdat
	.protected	_ZN2at6native12cross_kernelIa16OffsetCalculatorILi3EjLb0EEiEEviPT_PKS4_S7_T0_T1_S9_S9_ ; -- Begin function _ZN2at6native12cross_kernelIa16OffsetCalculatorILi3EjLb0EEiEEviPT_PKS4_S7_T0_T1_S9_S9_
	.globl	_ZN2at6native12cross_kernelIa16OffsetCalculatorILi3EjLb0EEiEEviPT_PKS4_S7_T0_T1_S9_S9_
	.p2align	8
	.type	_ZN2at6native12cross_kernelIa16OffsetCalculatorILi3EjLb0EEiEEviPT_PKS4_S7_T0_T1_S9_S9_,@function
_ZN2at6native12cross_kernelIa16OffsetCalculatorILi3EjLb0EEiEEviPT_PKS4_S7_T0_T1_S9_S9_: ; @_ZN2at6native12cross_kernelIa16OffsetCalculatorILi3EjLb0EEiEEviPT_PKS4_S7_T0_T1_S9_S9_
; %bb.0:
	s_load_dword s24, s[0:1], 0x0
	s_load_dword s3, s[0:1], 0x1bc
	v_mov_b32_e32 v1, 0
	v_mov_b32_e32 v2, s2
	s_waitcnt lgkmcnt(0)
	s_ashr_i32 s25, s24, 31
	s_add_u32 s20, s0, 0x1b0
	s_addc_u32 s21, s1, 0
	s_and_b32 s30, s3, 0xffff
	v_mad_u64_u32 v[2:3], s[2:3], s30, v2, v[0:1]
	v_cmp_gt_i64_e32 vcc, s[24:25], v[2:3]
	s_and_saveexec_b64 s[2:3], vcc
	s_cbranch_execz .LBB3_13
; %bb.1:
	s_load_dwordx4 s[12:15], s[0:1], 0x1a4
	s_load_dwordx8 s[4:11], s[0:1], 0x20
	s_load_dwordx4 s[16:19], s[0:1], 0x8
	s_load_dwordx2 s[2:3], s[0:1], 0x18
	s_load_dword s33, s[20:21], 0x0
	s_load_dwordx2 s[36:37], s[0:1], 0xf4
	s_waitcnt lgkmcnt(0)
	s_add_i32 s11, s4, -1
	s_cmp_gt_u32 s11, 1
	s_cselect_b64 s[28:29], -1, 0
	s_cmp_lg_u32 s4, 0
	s_cselect_b64 s[34:35], -1, 0
	s_min_u32 s42, s11, 15
	s_load_dwordx4 s[20:23], s[0:1], 0xe4
	s_cmp_gt_u32 s4, 1
	s_cselect_b64 s[38:39], -1, 0
	s_mov_b32 s4, s9
	s_lshl_b32 s40, s14, 1
	s_add_i32 s9, s42, 1
	s_mov_b32 s26, s13
	s_ashr_i32 s27, s13, 31
	s_ashr_i32 s41, s40, 31
	;; [unrolled: 1-line block ×4, first 2 shown]
	s_and_b32 s9, s9, 30
	s_bitcmp0_b32 s42, 0
	s_cselect_b64 s[42:43], -1, 0
	s_add_u32 s0, s0, 12
	s_mov_b32 s31, 0
	s_waitcnt lgkmcnt(0)
	s_mov_b32 s11, s21
	s_mov_b32 s21, s22
	s_mul_i32 s30, s33, s30
	s_addc_u32 s1, s1, 0
	s_mov_b64 s[44:45], 0
	s_branch .LBB3_3
.LBB3_2:                                ;   in Loop: Header=BB3_3 Depth=1
	v_mov_b32_e32 v7, v1
	v_mov_b32_e32 v5, v1
	v_lshl_add_u64 v[8:9], s[18:19], 0, v[6:7]
	v_lshl_add_u64 v[10:11], s[2:3], 0, v[4:5]
	;; [unrolled: 1-line block ×4, first 2 shown]
	global_load_ubyte v14, v[8:9], off
	v_lshl_add_u64 v[8:9], v[8:9], 0, s[26:27]
	global_load_ubyte v12, v[12:13], off
	v_lshl_add_u64 v[10:11], v[10:11], 0, s[14:15]
	global_load_ubyte v13, v6, s[18:19]
	global_load_ubyte v15, v[10:11], off
	global_load_ubyte v16, v4, s[2:3]
	global_load_ubyte v17, v[8:9], off
	v_lshl_add_u64 v[2:3], v[2:3], 0, s[30:31]
	v_lshl_add_u64 v[4:5], s[16:17], 0, v[0:1]
	v_cmp_le_i64_e32 vcc, s[24:25], v[2:3]
	v_lshl_add_u64 v[4:5], v[4:5], 0, s[12:13]
	s_or_b64 s[44:45], vcc, s[44:45]
	v_lshl_add_u64 v[6:7], v[4:5], 0, s[12:13]
	s_waitcnt vmcnt(2)
	v_mul_lo_u16_e32 v10, v13, v15
	v_mul_lo_u16_e32 v8, v12, v14
	;; [unrolled: 1-line block ×3, first 2 shown]
	s_waitcnt vmcnt(0)
	v_mul_lo_u16_e32 v12, v15, v17
	v_mul_lo_u16_e32 v11, v16, v14
	;; [unrolled: 1-line block ×3, first 2 shown]
	v_sub_u16_e32 v8, v8, v12
	v_sub_u16_e32 v10, v10, v11
	v_sub_u16_e32 v9, v13, v9
	global_store_byte v0, v8, s[16:17]
	global_store_byte v[4:5], v9, off
	global_store_byte v[6:7], v10, off
	s_andn2_b64 exec, exec, s[44:45]
	s_cbranch_execz .LBB3_13
.LBB3_3:                                ; =>This Loop Header: Depth=1
                                        ;     Child Loop BB3_6 Depth 2
	s_andn2_b64 vcc, exec, s[28:29]
	s_cbranch_vccnz .LBB3_10
; %bb.4:                                ;   in Loop: Header=BB3_3 Depth=1
	s_andn2_b64 vcc, exec, s[34:35]
	v_mov_b32_e32 v4, 0
	v_mov_b32_e32 v6, 0
	;; [unrolled: 1-line block ×3, first 2 shown]
	s_cbranch_vccnz .LBB3_9
; %bb.5:                                ;   in Loop: Header=BB3_3 Depth=1
	v_mov_b32_e32 v0, 0
	s_mov_b32 s22, s9
	s_mov_b64 s[46:47], s[0:1]
	v_mov_b32_e32 v5, v2
	v_mov_b32_e32 v6, v0
	;; [unrolled: 1-line block ×3, first 2 shown]
.LBB3_6:                                ;   Parent Loop BB3_3 Depth=1
                                        ; =>  This Inner Loop Header: Depth=2
	s_mov_b64 s[56:57], s[46:47]
	s_load_dwordx4 s[48:51], s[56:57], 0x18
	s_load_dwordx2 s[58:59], s[56:57], 0x28
	s_load_dwordx2 s[60:61], s[56:57], 0xe8
	s_load_dwordx4 s[52:55], s[56:57], 0xd8
	s_add_u32 s46, s56, 24
	s_waitcnt lgkmcnt(0)
	v_mul_hi_u32 v7, s49, v5
	v_add_u32_e32 v7, v5, v7
	v_lshrrev_b32_e32 v7, s50, v7
	v_mul_lo_u32 v8, v7, s48
	v_mul_hi_u32 v9, s58, v7
	v_sub_u32_e32 v5, v5, v8
	v_add_u32_e32 v8, v7, v9
	v_mul_lo_u32 v9, v5, s52
	v_mul_lo_u32 v10, v5, s53
	;; [unrolled: 1-line block ×3, first 2 shown]
	v_lshrrev_b32_e32 v5, s59, v8
	v_mul_lo_u32 v8, v5, s51
	v_sub_u32_e32 v7, v7, v8
	s_addc_u32 s47, s57, 0
	s_add_i32 s22, s22, -2
	v_mul_lo_u32 v8, v7, s55
	v_mul_lo_u32 v12, v7, s60
	;; [unrolled: 1-line block ×3, first 2 shown]
	s_cmp_lg_u32 s22, 0
	v_add3_u32 v0, v9, v0, v8
	v_add3_u32 v4, v11, v4, v7
	;; [unrolled: 1-line block ×3, first 2 shown]
	s_cbranch_scc1 .LBB3_6
; %bb.7:                                ;   in Loop: Header=BB3_3 Depth=1
	s_andn2_b64 vcc, exec, s[42:43]
	s_cbranch_vccnz .LBB3_9
; %bb.8:                                ;   in Loop: Header=BB3_3 Depth=1
	s_load_dwordx2 s[48:49], s[46:47], 0x18
	s_load_dword s22, s[46:47], 0x20
	s_load_dword s33, s[46:47], 0xe0
	s_nop 0
	s_load_dwordx2 s[46:47], s[46:47], 0xd8
	s_waitcnt lgkmcnt(0)
	v_mul_hi_u32 v7, s49, v5
	v_add_u32_e32 v7, v5, v7
	v_lshrrev_b32_e32 v7, s22, v7
	v_mul_lo_u32 v7, v7, s48
	v_sub_u32_e32 v5, v5, v7
	v_mad_u64_u32 v[8:9], s[48:49], v5, s46, v[0:1]
	v_mad_u64_u32 v[6:7], s[46:47], v5, s47, v[6:7]
	;; [unrolled: 1-line block ×3, first 2 shown]
	v_mov_b32_e32 v0, v8
.LBB3_9:                                ;   in Loop: Header=BB3_3 Depth=1
	s_cbranch_execnz .LBB3_2
	s_branch .LBB3_11
.LBB3_10:                               ;   in Loop: Header=BB3_3 Depth=1
                                        ; implicit-def: $vgpr4
                                        ; implicit-def: $vgpr6
.LBB3_11:                               ;   in Loop: Header=BB3_3 Depth=1
	v_mul_hi_u32 v0, v2, s6
	v_add_u32_e32 v0, v0, v2
	v_lshrrev_b32_e32 v5, s7, v0
	v_mul_lo_u32 v0, v5, s5
	v_sub_u32_e32 v6, v2, v0
	v_mul_lo_u32 v0, v6, s20
	v_mul_lo_u32 v4, v6, s21
	s_andn2_b64 vcc, exec, s[38:39]
	v_mul_lo_u32 v6, v6, s11
	s_cbranch_vccnz .LBB3_2
; %bb.12:                               ;   in Loop: Header=BB3_3 Depth=1
	v_mul_hi_u32 v7, s4, v5
	v_add_u32_e32 v7, v5, v7
	v_lshrrev_b32_e32 v7, s10, v7
	v_mul_lo_u32 v7, v7, s8
	v_sub_u32_e32 v5, v5, v7
	v_mad_u64_u32 v[8:9], s[46:47], v5, s23, v[0:1]
	v_mad_u64_u32 v[6:7], s[46:47], v5, s36, v[6:7]
	;; [unrolled: 1-line block ×3, first 2 shown]
	v_mov_b32_e32 v0, v8
	s_branch .LBB3_2
.LBB3_13:
	s_endpgm
	.section	.rodata,"a",@progbits
	.p2align	6, 0x0
	.amdhsa_kernel _ZN2at6native12cross_kernelIa16OffsetCalculatorILi3EjLb0EEiEEviPT_PKS4_S7_T0_T1_S9_S9_
		.amdhsa_group_segment_fixed_size 0
		.amdhsa_private_segment_fixed_size 0
		.amdhsa_kernarg_size 688
		.amdhsa_user_sgpr_count 2
		.amdhsa_user_sgpr_dispatch_ptr 0
		.amdhsa_user_sgpr_queue_ptr 0
		.amdhsa_user_sgpr_kernarg_segment_ptr 1
		.amdhsa_user_sgpr_dispatch_id 0
		.amdhsa_user_sgpr_kernarg_preload_length 0
		.amdhsa_user_sgpr_kernarg_preload_offset 0
		.amdhsa_user_sgpr_private_segment_size 0
		.amdhsa_uses_dynamic_stack 0
		.amdhsa_enable_private_segment 0
		.amdhsa_system_sgpr_workgroup_id_x 1
		.amdhsa_system_sgpr_workgroup_id_y 0
		.amdhsa_system_sgpr_workgroup_id_z 0
		.amdhsa_system_sgpr_workgroup_info 0
		.amdhsa_system_vgpr_workitem_id 0
		.amdhsa_next_free_vgpr 18
		.amdhsa_next_free_sgpr 62
		.amdhsa_accum_offset 20
		.amdhsa_reserve_vcc 1
		.amdhsa_float_round_mode_32 0
		.amdhsa_float_round_mode_16_64 0
		.amdhsa_float_denorm_mode_32 3
		.amdhsa_float_denorm_mode_16_64 3
		.amdhsa_dx10_clamp 1
		.amdhsa_ieee_mode 1
		.amdhsa_fp16_overflow 0
		.amdhsa_tg_split 0
		.amdhsa_exception_fp_ieee_invalid_op 0
		.amdhsa_exception_fp_denorm_src 0
		.amdhsa_exception_fp_ieee_div_zero 0
		.amdhsa_exception_fp_ieee_overflow 0
		.amdhsa_exception_fp_ieee_underflow 0
		.amdhsa_exception_fp_ieee_inexact 0
		.amdhsa_exception_int_div_zero 0
	.end_amdhsa_kernel
	.section	.text._ZN2at6native12cross_kernelIa16OffsetCalculatorILi3EjLb0EEiEEviPT_PKS4_S7_T0_T1_S9_S9_,"axG",@progbits,_ZN2at6native12cross_kernelIa16OffsetCalculatorILi3EjLb0EEiEEviPT_PKS4_S7_T0_T1_S9_S9_,comdat
.Lfunc_end3:
	.size	_ZN2at6native12cross_kernelIa16OffsetCalculatorILi3EjLb0EEiEEviPT_PKS4_S7_T0_T1_S9_S9_, .Lfunc_end3-_ZN2at6native12cross_kernelIa16OffsetCalculatorILi3EjLb0EEiEEviPT_PKS4_S7_T0_T1_S9_S9_
                                        ; -- End function
	.section	.AMDGPU.csdata,"",@progbits
; Kernel info:
; codeLenInByte = 940
; NumSgprs: 68
; NumVgprs: 18
; NumAgprs: 0
; TotalNumVgprs: 18
; ScratchSize: 0
; MemoryBound: 0
; FloatMode: 240
; IeeeMode: 1
; LDSByteSize: 0 bytes/workgroup (compile time only)
; SGPRBlocks: 8
; VGPRBlocks: 2
; NumSGPRsForWavesPerEU: 68
; NumVGPRsForWavesPerEU: 18
; AccumOffset: 20
; Occupancy: 8
; WaveLimiterHint : 1
; COMPUTE_PGM_RSRC2:SCRATCH_EN: 0
; COMPUTE_PGM_RSRC2:USER_SGPR: 2
; COMPUTE_PGM_RSRC2:TRAP_HANDLER: 0
; COMPUTE_PGM_RSRC2:TGID_X_EN: 1
; COMPUTE_PGM_RSRC2:TGID_Y_EN: 0
; COMPUTE_PGM_RSRC2:TGID_Z_EN: 0
; COMPUTE_PGM_RSRC2:TIDIG_COMP_CNT: 0
; COMPUTE_PGM_RSRC3_GFX90A:ACCUM_OFFSET: 4
; COMPUTE_PGM_RSRC3_GFX90A:TG_SPLIT: 0
	.section	.text._ZN2at6native12cross_kernelIi16OffsetCalculatorILi3EjLb0EElEEviPT_PKS4_S7_T0_T1_S9_S9_,"axG",@progbits,_ZN2at6native12cross_kernelIi16OffsetCalculatorILi3EjLb0EElEEviPT_PKS4_S7_T0_T1_S9_S9_,comdat
	.protected	_ZN2at6native12cross_kernelIi16OffsetCalculatorILi3EjLb0EElEEviPT_PKS4_S7_T0_T1_S9_S9_ ; -- Begin function _ZN2at6native12cross_kernelIi16OffsetCalculatorILi3EjLb0EElEEviPT_PKS4_S7_T0_T1_S9_S9_
	.globl	_ZN2at6native12cross_kernelIi16OffsetCalculatorILi3EjLb0EElEEviPT_PKS4_S7_T0_T1_S9_S9_
	.p2align	8
	.type	_ZN2at6native12cross_kernelIi16OffsetCalculatorILi3EjLb0EElEEviPT_PKS4_S7_T0_T1_S9_S9_,@function
_ZN2at6native12cross_kernelIi16OffsetCalculatorILi3EjLb0EElEEviPT_PKS4_S7_T0_T1_S9_S9_: ; @_ZN2at6native12cross_kernelIi16OffsetCalculatorILi3EjLb0EElEEviPT_PKS4_S7_T0_T1_S9_S9_
; %bb.0:
	s_load_dword s24, s[0:1], 0x0
	s_load_dword s3, s[0:1], 0x1cc
	v_mov_b32_e32 v1, 0
	v_mov_b32_e32 v2, s2
	s_waitcnt lgkmcnt(0)
	s_ashr_i32 s25, s24, 31
	s_add_u32 s20, s0, 0x1c0
	s_addc_u32 s21, s1, 0
	s_and_b32 s28, s3, 0xffff
	v_mad_u64_u32 v[2:3], s[2:3], s28, v2, v[0:1]
	v_cmp_gt_i64_e32 vcc, s[24:25], v[2:3]
	s_and_saveexec_b64 s[2:3], vcc
	s_cbranch_execz .LBB4_13
; %bb.1:
	s_load_dwordx8 s[4:11], s[0:1], 0x20
	s_load_dwordx4 s[12:15], s[0:1], 0x8
	s_load_dwordx2 s[2:3], s[0:1], 0x18
	s_load_dwordx2 s[44:45], s[0:1], 0x1b8
	s_load_dwordx4 s[16:19], s[0:1], 0x1a8
	s_load_dword s33, s[20:21], 0x0
	s_waitcnt lgkmcnt(0)
	s_add_i32 s11, s4, -1
	s_cmp_gt_u32 s11, 1
	s_cselect_b64 s[26:27], -1, 0
	s_cmp_lg_u32 s4, 0
	s_cselect_b64 s[30:31], -1, 0
	s_min_u32 s40, s11, 15
	s_cmp_gt_u32 s4, 1
	s_cselect_b64 s[36:37], -1, 0
	s_mov_b32 s4, s9
	s_add_i32 s9, s40, 1
	s_lshl_b64 s[38:39], s[44:45], 3
	s_and_b32 s9, s9, 30
	s_load_dwordx4 s[20:23], s[0:1], 0xe4
	s_load_dwordx2 s[34:35], s[0:1], 0xf4
	s_bitcmp0_b32 s40, 0
	s_cselect_b64 s[40:41], -1, 0
	s_lshl_b64 s[42:43], s[18:19], 2
	s_lshl_b64 s[46:47], s[44:45], 2
	s_sub_u32 s46, 0, s46
	s_subb_u32 s47, 0, s47
	s_lshl_b64 s[48:49], s[16:17], 2
	s_add_u32 s0, s0, 12
	s_mov_b32 s29, 0
	s_waitcnt lgkmcnt(0)
	s_mov_b32 s11, s21
	s_mov_b32 s21, s22
	s_mul_i32 s28, s33, s28
	s_mov_b64 s[44:45], 0
	s_addc_u32 s1, s1, 0
	s_branch .LBB4_3
.LBB4_2:                                ;   in Loop: Header=BB4_3 Depth=1
	v_mov_b32_e32 v7, v1
	v_lshl_add_u64 v[6:7], v[6:7], 2, s[14:15]
	v_mov_b32_e32 v5, v1
	v_lshl_add_u64 v[4:5], v[4:5], 2, s[2:3]
	v_lshl_add_u64 v[8:9], s[18:19], 2, v[6:7]
	global_load_dword v12, v[8:9], off
	v_lshl_add_u64 v[10:11], v[4:5], 0, s[38:39]
	v_lshl_add_u64 v[8:9], v[8:9], 0, s[42:43]
	global_load_dword v13, v[10:11], off
	global_load_dword v14, v[8:9], off
	v_lshl_add_u64 v[8:9], v[10:11], 0, s[46:47]
	global_load_dword v10, v[6:7], off
	global_load_dword v11, v[4:5], off
	;; [unrolled: 1-line block ×3, first 2 shown]
	v_lshl_add_u64 v[2:3], v[2:3], 0, s[28:29]
	v_lshl_add_u64 v[4:5], v[0:1], 2, s[12:13]
	v_cmp_le_i64_e32 vcc, s[24:25], v[2:3]
	v_lshl_add_u64 v[6:7], s[16:17], 2, v[4:5]
	s_or_b64 s[44:45], vcc, s[44:45]
	v_lshl_add_u64 v[8:9], v[6:7], 0, s[48:49]
	s_waitcnt vmcnt(4)
	v_mul_lo_u32 v0, v13, v12
	s_waitcnt vmcnt(2)
	v_mul_lo_u32 v13, v10, v13
	s_waitcnt vmcnt(1)
	v_mul_lo_u32 v12, v11, v12
	s_waitcnt vmcnt(0)
	v_mul_lo_u32 v16, v15, v14
	v_mul_lo_u32 v11, v11, v14
	v_mul_lo_u32 v10, v10, v15
	v_sub_u32_e32 v0, v0, v16
	v_sub_u32_e32 v11, v11, v13
	;; [unrolled: 1-line block ×3, first 2 shown]
	global_store_dword v[4:5], v0, off
	global_store_dword v[6:7], v11, off
	;; [unrolled: 1-line block ×3, first 2 shown]
	s_andn2_b64 exec, exec, s[44:45]
	s_cbranch_execz .LBB4_13
.LBB4_3:                                ; =>This Loop Header: Depth=1
                                        ;     Child Loop BB4_6 Depth 2
	s_andn2_b64 vcc, exec, s[26:27]
	s_cbranch_vccnz .LBB4_10
; %bb.4:                                ;   in Loop: Header=BB4_3 Depth=1
	s_andn2_b64 vcc, exec, s[30:31]
	v_mov_b32_e32 v4, 0
	v_mov_b32_e32 v6, 0
	;; [unrolled: 1-line block ×3, first 2 shown]
	s_cbranch_vccnz .LBB4_9
; %bb.5:                                ;   in Loop: Header=BB4_3 Depth=1
	v_mov_b32_e32 v0, 0
	s_mov_b32 s22, s9
	s_mov_b64 s[50:51], s[0:1]
	v_mov_b32_e32 v5, v2
	v_mov_b32_e32 v6, v0
	;; [unrolled: 1-line block ×3, first 2 shown]
.LBB4_6:                                ;   Parent Loop BB4_3 Depth=1
                                        ; =>  This Inner Loop Header: Depth=2
	s_mov_b64 s[60:61], s[50:51]
	s_load_dwordx4 s[52:55], s[60:61], 0x18
	s_load_dwordx2 s[62:63], s[60:61], 0x28
	s_load_dwordx2 s[64:65], s[60:61], 0xe8
	s_load_dwordx4 s[56:59], s[60:61], 0xd8
	s_add_u32 s50, s60, 24
	s_waitcnt lgkmcnt(0)
	v_mul_hi_u32 v7, s53, v5
	v_add_u32_e32 v7, v5, v7
	v_lshrrev_b32_e32 v7, s54, v7
	v_mul_lo_u32 v8, v7, s52
	v_mul_hi_u32 v9, s62, v7
	v_sub_u32_e32 v5, v5, v8
	v_add_u32_e32 v8, v7, v9
	v_mul_lo_u32 v9, v5, s56
	v_mul_lo_u32 v10, v5, s57
	;; [unrolled: 1-line block ×3, first 2 shown]
	v_lshrrev_b32_e32 v5, s63, v8
	v_mul_lo_u32 v8, v5, s55
	v_sub_u32_e32 v7, v7, v8
	s_addc_u32 s51, s61, 0
	s_add_i32 s22, s22, -2
	v_mul_lo_u32 v8, v7, s59
	v_mul_lo_u32 v12, v7, s64
	;; [unrolled: 1-line block ×3, first 2 shown]
	s_cmp_lg_u32 s22, 0
	v_add3_u32 v0, v9, v0, v8
	v_add3_u32 v4, v11, v4, v7
	;; [unrolled: 1-line block ×3, first 2 shown]
	s_cbranch_scc1 .LBB4_6
; %bb.7:                                ;   in Loop: Header=BB4_3 Depth=1
	s_andn2_b64 vcc, exec, s[40:41]
	s_cbranch_vccnz .LBB4_9
; %bb.8:                                ;   in Loop: Header=BB4_3 Depth=1
	s_load_dwordx2 s[52:53], s[50:51], 0x18
	s_load_dword s22, s[50:51], 0x20
	s_load_dword s33, s[50:51], 0xe0
	s_nop 0
	s_load_dwordx2 s[50:51], s[50:51], 0xd8
	s_waitcnt lgkmcnt(0)
	v_mul_hi_u32 v7, s53, v5
	v_add_u32_e32 v7, v5, v7
	v_lshrrev_b32_e32 v7, s22, v7
	v_mul_lo_u32 v7, v7, s52
	v_sub_u32_e32 v5, v5, v7
	v_mad_u64_u32 v[8:9], s[52:53], v5, s50, v[0:1]
	v_mad_u64_u32 v[6:7], s[50:51], v5, s51, v[6:7]
	;; [unrolled: 1-line block ×3, first 2 shown]
	v_mov_b32_e32 v0, v8
.LBB4_9:                                ;   in Loop: Header=BB4_3 Depth=1
	s_cbranch_execnz .LBB4_2
	s_branch .LBB4_11
.LBB4_10:                               ;   in Loop: Header=BB4_3 Depth=1
                                        ; implicit-def: $vgpr4
                                        ; implicit-def: $vgpr6
.LBB4_11:                               ;   in Loop: Header=BB4_3 Depth=1
	v_mul_hi_u32 v0, v2, s6
	v_add_u32_e32 v0, v0, v2
	v_lshrrev_b32_e32 v5, s7, v0
	v_mul_lo_u32 v0, v5, s5
	v_sub_u32_e32 v6, v2, v0
	v_mul_lo_u32 v0, v6, s20
	v_mul_lo_u32 v4, v6, s21
	s_andn2_b64 vcc, exec, s[36:37]
	v_mul_lo_u32 v6, v6, s11
	s_cbranch_vccnz .LBB4_2
; %bb.12:                               ;   in Loop: Header=BB4_3 Depth=1
	v_mul_hi_u32 v7, s4, v5
	v_add_u32_e32 v7, v5, v7
	v_lshrrev_b32_e32 v7, s10, v7
	v_mul_lo_u32 v7, v7, s8
	v_sub_u32_e32 v5, v5, v7
	v_mad_u64_u32 v[8:9], s[50:51], v5, s23, v[0:1]
	v_mad_u64_u32 v[6:7], s[50:51], v5, s34, v[6:7]
	;; [unrolled: 1-line block ×3, first 2 shown]
	v_mov_b32_e32 v0, v8
	s_branch .LBB4_2
.LBB4_13:
	s_endpgm
	.section	.rodata,"a",@progbits
	.p2align	6, 0x0
	.amdhsa_kernel _ZN2at6native12cross_kernelIi16OffsetCalculatorILi3EjLb0EElEEviPT_PKS4_S7_T0_T1_S9_S9_
		.amdhsa_group_segment_fixed_size 0
		.amdhsa_private_segment_fixed_size 0
		.amdhsa_kernarg_size 704
		.amdhsa_user_sgpr_count 2
		.amdhsa_user_sgpr_dispatch_ptr 0
		.amdhsa_user_sgpr_queue_ptr 0
		.amdhsa_user_sgpr_kernarg_segment_ptr 1
		.amdhsa_user_sgpr_dispatch_id 0
		.amdhsa_user_sgpr_kernarg_preload_length 0
		.amdhsa_user_sgpr_kernarg_preload_offset 0
		.amdhsa_user_sgpr_private_segment_size 0
		.amdhsa_uses_dynamic_stack 0
		.amdhsa_enable_private_segment 0
		.amdhsa_system_sgpr_workgroup_id_x 1
		.amdhsa_system_sgpr_workgroup_id_y 0
		.amdhsa_system_sgpr_workgroup_id_z 0
		.amdhsa_system_sgpr_workgroup_info 0
		.amdhsa_system_vgpr_workitem_id 0
		.amdhsa_next_free_vgpr 17
		.amdhsa_next_free_sgpr 66
		.amdhsa_accum_offset 20
		.amdhsa_reserve_vcc 1
		.amdhsa_float_round_mode_32 0
		.amdhsa_float_round_mode_16_64 0
		.amdhsa_float_denorm_mode_32 3
		.amdhsa_float_denorm_mode_16_64 3
		.amdhsa_dx10_clamp 1
		.amdhsa_ieee_mode 1
		.amdhsa_fp16_overflow 0
		.amdhsa_tg_split 0
		.amdhsa_exception_fp_ieee_invalid_op 0
		.amdhsa_exception_fp_denorm_src 0
		.amdhsa_exception_fp_ieee_div_zero 0
		.amdhsa_exception_fp_ieee_overflow 0
		.amdhsa_exception_fp_ieee_underflow 0
		.amdhsa_exception_fp_ieee_inexact 0
		.amdhsa_exception_int_div_zero 0
	.end_amdhsa_kernel
	.section	.text._ZN2at6native12cross_kernelIi16OffsetCalculatorILi3EjLb0EElEEviPT_PKS4_S7_T0_T1_S9_S9_,"axG",@progbits,_ZN2at6native12cross_kernelIi16OffsetCalculatorILi3EjLb0EElEEviPT_PKS4_S7_T0_T1_S9_S9_,comdat
.Lfunc_end4:
	.size	_ZN2at6native12cross_kernelIi16OffsetCalculatorILi3EjLb0EElEEviPT_PKS4_S7_T0_T1_S9_S9_, .Lfunc_end4-_ZN2at6native12cross_kernelIi16OffsetCalculatorILi3EjLb0EElEEviPT_PKS4_S7_T0_T1_S9_S9_
                                        ; -- End function
	.section	.AMDGPU.csdata,"",@progbits
; Kernel info:
; codeLenInByte = 980
; NumSgprs: 72
; NumVgprs: 17
; NumAgprs: 0
; TotalNumVgprs: 17
; ScratchSize: 0
; MemoryBound: 0
; FloatMode: 240
; IeeeMode: 1
; LDSByteSize: 0 bytes/workgroup (compile time only)
; SGPRBlocks: 8
; VGPRBlocks: 2
; NumSGPRsForWavesPerEU: 72
; NumVGPRsForWavesPerEU: 17
; AccumOffset: 20
; Occupancy: 8
; WaveLimiterHint : 1
; COMPUTE_PGM_RSRC2:SCRATCH_EN: 0
; COMPUTE_PGM_RSRC2:USER_SGPR: 2
; COMPUTE_PGM_RSRC2:TRAP_HANDLER: 0
; COMPUTE_PGM_RSRC2:TGID_X_EN: 1
; COMPUTE_PGM_RSRC2:TGID_Y_EN: 0
; COMPUTE_PGM_RSRC2:TGID_Z_EN: 0
; COMPUTE_PGM_RSRC2:TIDIG_COMP_CNT: 0
; COMPUTE_PGM_RSRC3_GFX90A:ACCUM_OFFSET: 4
; COMPUTE_PGM_RSRC3_GFX90A:TG_SPLIT: 0
	.section	.text._ZN2at6native12cross_kernelIi16OffsetCalculatorILi3EjLb0EEiEEviPT_PKS4_S7_T0_T1_S9_S9_,"axG",@progbits,_ZN2at6native12cross_kernelIi16OffsetCalculatorILi3EjLb0EEiEEviPT_PKS4_S7_T0_T1_S9_S9_,comdat
	.protected	_ZN2at6native12cross_kernelIi16OffsetCalculatorILi3EjLb0EEiEEviPT_PKS4_S7_T0_T1_S9_S9_ ; -- Begin function _ZN2at6native12cross_kernelIi16OffsetCalculatorILi3EjLb0EEiEEviPT_PKS4_S7_T0_T1_S9_S9_
	.globl	_ZN2at6native12cross_kernelIi16OffsetCalculatorILi3EjLb0EEiEEviPT_PKS4_S7_T0_T1_S9_S9_
	.p2align	8
	.type	_ZN2at6native12cross_kernelIi16OffsetCalculatorILi3EjLb0EEiEEviPT_PKS4_S7_T0_T1_S9_S9_,@function
_ZN2at6native12cross_kernelIi16OffsetCalculatorILi3EjLb0EEiEEviPT_PKS4_S7_T0_T1_S9_S9_: ; @_ZN2at6native12cross_kernelIi16OffsetCalculatorILi3EjLb0EEiEEviPT_PKS4_S7_T0_T1_S9_S9_
; %bb.0:
	s_load_dword s24, s[0:1], 0x0
	s_load_dword s3, s[0:1], 0x1bc
	v_mov_b32_e32 v1, 0
	v_mov_b32_e32 v2, s2
	s_waitcnt lgkmcnt(0)
	s_ashr_i32 s25, s24, 31
	s_add_u32 s20, s0, 0x1b0
	s_addc_u32 s21, s1, 0
	s_and_b32 s28, s3, 0xffff
	v_mad_u64_u32 v[2:3], s[2:3], s28, v2, v[0:1]
	v_cmp_gt_i64_e32 vcc, s[24:25], v[2:3]
	s_and_saveexec_b64 s[2:3], vcc
	s_cbranch_execz .LBB5_13
; %bb.1:
	s_load_dwordx8 s[4:11], s[0:1], 0x20
	s_load_dwordx4 s[12:15], s[0:1], 0x8
	s_load_dwordx2 s[2:3], s[0:1], 0x18
	s_load_dwordx4 s[16:19], s[0:1], 0x1a4
	s_waitcnt lgkmcnt(0)
	s_load_dword s19, s[20:21], 0x0
	s_add_i32 s11, s4, -1
	s_cmp_gt_u32 s11, 1
	s_cselect_b64 s[26:27], -1, 0
	s_cmp_lg_u32 s4, 0
	s_cselect_b64 s[30:31], -1, 0
	s_min_u32 s33, s11, 15
	s_cmp_gt_u32 s4, 1
	s_cselect_b64 s[36:37], -1, 0
	s_mov_b32 s4, s9
	s_lshl_b32 s40, s18, 1
	s_add_i32 s9, s33, 1
	s_ashr_i32 s39, s17, 31
	s_mov_b32 s38, s17
	s_ashr_i32 s41, s40, 31
	s_ashr_i32 s17, s16, 31
	s_and_b32 s9, s9, 30
	s_bitcmp0_b32 s33, 0
                                        ; kill: killed $sgpr20 killed $sgpr21
	s_load_dwordx4 s[20:23], s[0:1], 0xe4
	s_load_dwordx2 s[34:35], s[0:1], 0xf4
	s_waitcnt lgkmcnt(0)
	s_mul_i32 s28, s19, s28
	s_cselect_b64 s[42:43], -1, 0
	s_ashr_i32 s19, s18, 31
	s_lshl_b64 s[44:45], s[38:39], 2
	s_lshl_b64 s[46:47], s[18:19], 2
	s_sub_u32 s46, 0, s46
	s_subb_u32 s47, 0, s47
	s_lshl_b64 s[48:49], s[16:17], 2
	s_add_u32 s0, s0, 12
	s_mov_b32 s29, 0
	s_mov_b32 s11, s21
	;; [unrolled: 1-line block ×3, first 2 shown]
	s_mov_b64 s[18:19], 0
	s_addc_u32 s1, s1, 0
	s_branch .LBB5_3
.LBB5_2:                                ;   in Loop: Header=BB5_3 Depth=1
	v_mov_b32_e32 v7, v1
	v_lshl_add_u64 v[6:7], v[6:7], 2, s[14:15]
	v_mov_b32_e32 v5, v1
	v_lshl_add_u64 v[4:5], v[4:5], 2, s[2:3]
	v_lshl_add_u64 v[8:9], s[38:39], 2, v[6:7]
	global_load_dword v12, v[8:9], off
	v_lshl_add_u64 v[10:11], s[40:41], 2, v[4:5]
	v_lshl_add_u64 v[8:9], v[8:9], 0, s[44:45]
	global_load_dword v13, v[10:11], off
	global_load_dword v14, v[8:9], off
	v_lshl_add_u64 v[8:9], v[10:11], 0, s[46:47]
	global_load_dword v10, v[6:7], off
	global_load_dword v11, v[4:5], off
	;; [unrolled: 1-line block ×3, first 2 shown]
	v_lshl_add_u64 v[2:3], v[2:3], 0, s[28:29]
	v_lshl_add_u64 v[4:5], v[0:1], 2, s[12:13]
	v_cmp_le_i64_e32 vcc, s[24:25], v[2:3]
	v_lshl_add_u64 v[6:7], s[16:17], 2, v[4:5]
	s_or_b64 s[18:19], vcc, s[18:19]
	v_lshl_add_u64 v[8:9], v[6:7], 0, s[48:49]
	s_waitcnt vmcnt(4)
	v_mul_lo_u32 v0, v13, v12
	s_waitcnt vmcnt(2)
	v_mul_lo_u32 v13, v10, v13
	;; [unrolled: 2-line block ×4, first 2 shown]
	v_mul_lo_u32 v11, v11, v14
	v_mul_lo_u32 v10, v10, v15
	v_sub_u32_e32 v0, v0, v16
	v_sub_u32_e32 v11, v11, v13
	;; [unrolled: 1-line block ×3, first 2 shown]
	global_store_dword v[4:5], v0, off
	global_store_dword v[6:7], v11, off
	;; [unrolled: 1-line block ×3, first 2 shown]
	s_andn2_b64 exec, exec, s[18:19]
	s_cbranch_execz .LBB5_13
.LBB5_3:                                ; =>This Loop Header: Depth=1
                                        ;     Child Loop BB5_6 Depth 2
	s_andn2_b64 vcc, exec, s[26:27]
	s_cbranch_vccnz .LBB5_10
; %bb.4:                                ;   in Loop: Header=BB5_3 Depth=1
	s_andn2_b64 vcc, exec, s[30:31]
	v_mov_b32_e32 v4, 0
	v_mov_b32_e32 v6, 0
	;; [unrolled: 1-line block ×3, first 2 shown]
	s_cbranch_vccnz .LBB5_9
; %bb.5:                                ;   in Loop: Header=BB5_3 Depth=1
	v_mov_b32_e32 v0, 0
	s_mov_b32 s22, s9
	s_mov_b64 s[50:51], s[0:1]
	v_mov_b32_e32 v5, v2
	v_mov_b32_e32 v6, v0
	v_mov_b32_e32 v4, v0
.LBB5_6:                                ;   Parent Loop BB5_3 Depth=1
                                        ; =>  This Inner Loop Header: Depth=2
	s_mov_b64 s[60:61], s[50:51]
	s_load_dwordx4 s[52:55], s[60:61], 0x18
	s_load_dwordx2 s[62:63], s[60:61], 0x28
	s_load_dwordx2 s[64:65], s[60:61], 0xe8
	s_load_dwordx4 s[56:59], s[60:61], 0xd8
	s_add_u32 s50, s60, 24
	s_waitcnt lgkmcnt(0)
	v_mul_hi_u32 v7, s53, v5
	v_add_u32_e32 v7, v5, v7
	v_lshrrev_b32_e32 v7, s54, v7
	v_mul_lo_u32 v8, v7, s52
	v_mul_hi_u32 v9, s62, v7
	v_sub_u32_e32 v5, v5, v8
	v_add_u32_e32 v8, v7, v9
	v_mul_lo_u32 v9, v5, s56
	v_mul_lo_u32 v10, v5, s57
	;; [unrolled: 1-line block ×3, first 2 shown]
	v_lshrrev_b32_e32 v5, s63, v8
	v_mul_lo_u32 v8, v5, s55
	v_sub_u32_e32 v7, v7, v8
	s_addc_u32 s51, s61, 0
	s_add_i32 s22, s22, -2
	v_mul_lo_u32 v8, v7, s59
	v_mul_lo_u32 v12, v7, s64
	;; [unrolled: 1-line block ×3, first 2 shown]
	s_cmp_lg_u32 s22, 0
	v_add3_u32 v0, v9, v0, v8
	v_add3_u32 v4, v11, v4, v7
	;; [unrolled: 1-line block ×3, first 2 shown]
	s_cbranch_scc1 .LBB5_6
; %bb.7:                                ;   in Loop: Header=BB5_3 Depth=1
	s_andn2_b64 vcc, exec, s[42:43]
	s_cbranch_vccnz .LBB5_9
; %bb.8:                                ;   in Loop: Header=BB5_3 Depth=1
	s_load_dwordx2 s[52:53], s[50:51], 0x18
	s_load_dword s22, s[50:51], 0x20
	s_load_dword s33, s[50:51], 0xe0
	s_nop 0
	s_load_dwordx2 s[50:51], s[50:51], 0xd8
	s_waitcnt lgkmcnt(0)
	v_mul_hi_u32 v7, s53, v5
	v_add_u32_e32 v7, v5, v7
	v_lshrrev_b32_e32 v7, s22, v7
	v_mul_lo_u32 v7, v7, s52
	v_sub_u32_e32 v5, v5, v7
	v_mad_u64_u32 v[8:9], s[52:53], v5, s50, v[0:1]
	v_mad_u64_u32 v[6:7], s[50:51], v5, s51, v[6:7]
	;; [unrolled: 1-line block ×3, first 2 shown]
	v_mov_b32_e32 v0, v8
.LBB5_9:                                ;   in Loop: Header=BB5_3 Depth=1
	s_cbranch_execnz .LBB5_2
	s_branch .LBB5_11
.LBB5_10:                               ;   in Loop: Header=BB5_3 Depth=1
                                        ; implicit-def: $vgpr4
                                        ; implicit-def: $vgpr6
.LBB5_11:                               ;   in Loop: Header=BB5_3 Depth=1
	v_mul_hi_u32 v0, v2, s6
	v_add_u32_e32 v0, v0, v2
	v_lshrrev_b32_e32 v5, s7, v0
	v_mul_lo_u32 v0, v5, s5
	v_sub_u32_e32 v6, v2, v0
	v_mul_lo_u32 v0, v6, s20
	v_mul_lo_u32 v4, v6, s21
	s_andn2_b64 vcc, exec, s[36:37]
	v_mul_lo_u32 v6, v6, s11
	s_cbranch_vccnz .LBB5_2
; %bb.12:                               ;   in Loop: Header=BB5_3 Depth=1
	v_mul_hi_u32 v7, s4, v5
	v_add_u32_e32 v7, v5, v7
	v_lshrrev_b32_e32 v7, s10, v7
	v_mul_lo_u32 v7, v7, s8
	v_sub_u32_e32 v5, v5, v7
	v_mad_u64_u32 v[8:9], s[50:51], v5, s23, v[0:1]
	v_mad_u64_u32 v[6:7], s[50:51], v5, s34, v[6:7]
	;; [unrolled: 1-line block ×3, first 2 shown]
	v_mov_b32_e32 v0, v8
	s_branch .LBB5_2
.LBB5_13:
	s_endpgm
	.section	.rodata,"a",@progbits
	.p2align	6, 0x0
	.amdhsa_kernel _ZN2at6native12cross_kernelIi16OffsetCalculatorILi3EjLb0EEiEEviPT_PKS4_S7_T0_T1_S9_S9_
		.amdhsa_group_segment_fixed_size 0
		.amdhsa_private_segment_fixed_size 0
		.amdhsa_kernarg_size 688
		.amdhsa_user_sgpr_count 2
		.amdhsa_user_sgpr_dispatch_ptr 0
		.amdhsa_user_sgpr_queue_ptr 0
		.amdhsa_user_sgpr_kernarg_segment_ptr 1
		.amdhsa_user_sgpr_dispatch_id 0
		.amdhsa_user_sgpr_kernarg_preload_length 0
		.amdhsa_user_sgpr_kernarg_preload_offset 0
		.amdhsa_user_sgpr_private_segment_size 0
		.amdhsa_uses_dynamic_stack 0
		.amdhsa_enable_private_segment 0
		.amdhsa_system_sgpr_workgroup_id_x 1
		.amdhsa_system_sgpr_workgroup_id_y 0
		.amdhsa_system_sgpr_workgroup_id_z 0
		.amdhsa_system_sgpr_workgroup_info 0
		.amdhsa_system_vgpr_workitem_id 0
		.amdhsa_next_free_vgpr 17
		.amdhsa_next_free_sgpr 66
		.amdhsa_accum_offset 20
		.amdhsa_reserve_vcc 1
		.amdhsa_float_round_mode_32 0
		.amdhsa_float_round_mode_16_64 0
		.amdhsa_float_denorm_mode_32 3
		.amdhsa_float_denorm_mode_16_64 3
		.amdhsa_dx10_clamp 1
		.amdhsa_ieee_mode 1
		.amdhsa_fp16_overflow 0
		.amdhsa_tg_split 0
		.amdhsa_exception_fp_ieee_invalid_op 0
		.amdhsa_exception_fp_denorm_src 0
		.amdhsa_exception_fp_ieee_div_zero 0
		.amdhsa_exception_fp_ieee_overflow 0
		.amdhsa_exception_fp_ieee_underflow 0
		.amdhsa_exception_fp_ieee_inexact 0
		.amdhsa_exception_int_div_zero 0
	.end_amdhsa_kernel
	.section	.text._ZN2at6native12cross_kernelIi16OffsetCalculatorILi3EjLb0EEiEEviPT_PKS4_S7_T0_T1_S9_S9_,"axG",@progbits,_ZN2at6native12cross_kernelIi16OffsetCalculatorILi3EjLb0EEiEEviPT_PKS4_S7_T0_T1_S9_S9_,comdat
.Lfunc_end5:
	.size	_ZN2at6native12cross_kernelIi16OffsetCalculatorILi3EjLb0EEiEEviPT_PKS4_S7_T0_T1_S9_S9_, .Lfunc_end5-_ZN2at6native12cross_kernelIi16OffsetCalculatorILi3EjLb0EEiEEviPT_PKS4_S7_T0_T1_S9_S9_
                                        ; -- End function
	.section	.AMDGPU.csdata,"",@progbits
; Kernel info:
; codeLenInByte = 992
; NumSgprs: 72
; NumVgprs: 17
; NumAgprs: 0
; TotalNumVgprs: 17
; ScratchSize: 0
; MemoryBound: 0
; FloatMode: 240
; IeeeMode: 1
; LDSByteSize: 0 bytes/workgroup (compile time only)
; SGPRBlocks: 8
; VGPRBlocks: 2
; NumSGPRsForWavesPerEU: 72
; NumVGPRsForWavesPerEU: 17
; AccumOffset: 20
; Occupancy: 8
; WaveLimiterHint : 1
; COMPUTE_PGM_RSRC2:SCRATCH_EN: 0
; COMPUTE_PGM_RSRC2:USER_SGPR: 2
; COMPUTE_PGM_RSRC2:TRAP_HANDLER: 0
; COMPUTE_PGM_RSRC2:TGID_X_EN: 1
; COMPUTE_PGM_RSRC2:TGID_Y_EN: 0
; COMPUTE_PGM_RSRC2:TGID_Z_EN: 0
; COMPUTE_PGM_RSRC2:TIDIG_COMP_CNT: 0
; COMPUTE_PGM_RSRC3_GFX90A:ACCUM_OFFSET: 4
; COMPUTE_PGM_RSRC3_GFX90A:TG_SPLIT: 0
	.section	.text._ZN2at6native12cross_kernelIl16OffsetCalculatorILi3EjLb0EElEEviPT_PKS4_S7_T0_T1_S9_S9_,"axG",@progbits,_ZN2at6native12cross_kernelIl16OffsetCalculatorILi3EjLb0EElEEviPT_PKS4_S7_T0_T1_S9_S9_,comdat
	.protected	_ZN2at6native12cross_kernelIl16OffsetCalculatorILi3EjLb0EElEEviPT_PKS4_S7_T0_T1_S9_S9_ ; -- Begin function _ZN2at6native12cross_kernelIl16OffsetCalculatorILi3EjLb0EElEEviPT_PKS4_S7_T0_T1_S9_S9_
	.globl	_ZN2at6native12cross_kernelIl16OffsetCalculatorILi3EjLb0EElEEviPT_PKS4_S7_T0_T1_S9_S9_
	.p2align	8
	.type	_ZN2at6native12cross_kernelIl16OffsetCalculatorILi3EjLb0EElEEviPT_PKS4_S7_T0_T1_S9_S9_,@function
_ZN2at6native12cross_kernelIl16OffsetCalculatorILi3EjLb0EElEEviPT_PKS4_S7_T0_T1_S9_S9_: ; @_ZN2at6native12cross_kernelIl16OffsetCalculatorILi3EjLb0EElEEviPT_PKS4_S7_T0_T1_S9_S9_
; %bb.0:
	s_load_dword s24, s[0:1], 0x0
	s_load_dword s3, s[0:1], 0x1cc
	v_mov_b32_e32 v1, 0
	v_mov_b32_e32 v2, s2
	s_waitcnt lgkmcnt(0)
	s_ashr_i32 s25, s24, 31
	s_add_u32 s20, s0, 0x1c0
	s_addc_u32 s21, s1, 0
	s_and_b32 s28, s3, 0xffff
	v_mad_u64_u32 v[2:3], s[2:3], s28, v2, v[0:1]
	v_cmp_gt_i64_e32 vcc, s[24:25], v[2:3]
	s_and_saveexec_b64 s[2:3], vcc
	s_cbranch_execz .LBB6_13
; %bb.1:
	s_load_dwordx8 s[4:11], s[0:1], 0x20
	s_load_dwordx4 s[12:15], s[0:1], 0x8
	s_load_dwordx2 s[2:3], s[0:1], 0x18
	s_load_dwordx2 s[44:45], s[0:1], 0x1b8
	s_load_dwordx4 s[16:19], s[0:1], 0x1a8
	s_load_dword s33, s[20:21], 0x0
	s_waitcnt lgkmcnt(0)
	s_add_i32 s11, s4, -1
	s_cmp_gt_u32 s11, 1
	s_cselect_b64 s[26:27], -1, 0
	s_cmp_lg_u32 s4, 0
	s_cselect_b64 s[30:31], -1, 0
	s_min_u32 s40, s11, 15
	s_cmp_gt_u32 s4, 1
	s_cselect_b64 s[36:37], -1, 0
	s_mov_b32 s4, s9
	s_add_i32 s9, s40, 1
	s_lshl_b64 s[38:39], s[44:45], 4
	s_and_b32 s9, s9, 30
	s_load_dwordx4 s[20:23], s[0:1], 0xe4
	s_load_dwordx2 s[34:35], s[0:1], 0xf4
	s_bitcmp0_b32 s40, 0
	s_cselect_b64 s[40:41], -1, 0
	s_lshl_b64 s[42:43], s[18:19], 3
	s_lshl_b64 s[46:47], s[44:45], 3
	s_sub_u32 s46, 0, s46
	s_subb_u32 s47, 0, s47
	s_lshl_b64 s[48:49], s[16:17], 3
	s_add_u32 s0, s0, 12
	s_mov_b32 s29, 0
	s_waitcnt lgkmcnt(0)
	s_mov_b32 s11, s21
	s_mov_b32 s21, s22
	s_mul_i32 s28, s33, s28
	s_mov_b64 s[44:45], 0
	s_addc_u32 s1, s1, 0
	s_branch .LBB6_3
.LBB6_2:                                ;   in Loop: Header=BB6_3 Depth=1
	v_mov_b32_e32 v7, v1
	v_mov_b32_e32 v5, v1
	v_lshl_add_u64 v[6:7], v[6:7], 3, s[14:15]
	v_lshl_add_u64 v[4:5], v[4:5], 3, s[2:3]
	;; [unrolled: 1-line block ×4, first 2 shown]
	global_load_dwordx2 v[10:11], v[8:9], off
	global_load_dwordx2 v[14:15], v[12:13], off
	;; [unrolled: 1-line block ×4, first 2 shown]
	v_lshl_add_u64 v[4:5], v[8:9], 0, s[42:43]
	v_lshl_add_u64 v[6:7], v[12:13], 0, s[46:47]
	global_load_dwordx2 v[8:9], v[4:5], off
	global_load_dwordx2 v[12:13], v[6:7], off
	v_lshl_add_u64 v[4:5], v[0:1], 3, s[12:13]
	v_lshl_add_u64 v[2:3], v[2:3], 0, s[28:29]
	v_cmp_le_i64_e32 vcc, s[24:25], v[2:3]
	s_or_b64 s[44:45], vcc, s[44:45]
	v_lshl_add_u64 v[6:7], s[16:17], 3, v[4:5]
	v_lshl_add_u64 v[20:21], v[6:7], 0, s[48:49]
	s_waitcnt vmcnt(3)
	v_mul_lo_u32 v26, v17, v14
	v_mul_lo_u32 v0, v15, v10
	;; [unrolled: 1-line block ×3, first 2 shown]
	v_mad_u64_u32 v[22:23], s[50:51], v14, v10, 0
	v_add3_u32 v0, v23, v24, v0
	s_waitcnt vmcnt(0)
	v_mul_lo_u32 v23, v13, v8
	v_mul_lo_u32 v30, v12, v9
	v_mad_u64_u32 v[24:25], s[50:51], v12, v8, 0
	v_mul_lo_u32 v27, v16, v15
	v_mad_u64_u32 v[14:15], s[50:51], v16, v14, 0
	v_mul_lo_u32 v28, v19, v10
	v_mul_lo_u32 v29, v18, v11
	v_mad_u64_u32 v[10:11], s[50:51], v18, v10, 0
	v_mul_lo_u32 v19, v19, v8
	;; [unrolled: 3-line block ×3, first 2 shown]
	v_mul_lo_u32 v18, v16, v13
	v_mad_u64_u32 v[12:13], s[50:51], v16, v12, 0
	v_add3_u32 v23, v25, v30, v23
	v_sub_co_u32_e32 v16, vcc, v22, v24
	v_add3_u32 v13, v13, v18, v17
	s_nop 0
	v_subb_co_u32_e32 v17, vcc, v0, v23, vcc
	v_add3_u32 v15, v15, v27, v26
	v_add3_u32 v9, v9, v31, v19
	v_sub_co_u32_e32 v8, vcc, v8, v14
	v_add3_u32 v11, v11, v29, v28
	s_nop 0
	v_subb_co_u32_e32 v9, vcc, v9, v15, vcc
	v_sub_co_u32_e32 v10, vcc, v12, v10
	s_nop 1
	v_subb_co_u32_e32 v11, vcc, v13, v11, vcc
	global_store_dwordx2 v[4:5], v[16:17], off
	global_store_dwordx2 v[6:7], v[8:9], off
	;; [unrolled: 1-line block ×3, first 2 shown]
	s_andn2_b64 exec, exec, s[44:45]
	s_cbranch_execz .LBB6_13
.LBB6_3:                                ; =>This Loop Header: Depth=1
                                        ;     Child Loop BB6_6 Depth 2
	s_andn2_b64 vcc, exec, s[26:27]
	s_cbranch_vccnz .LBB6_10
; %bb.4:                                ;   in Loop: Header=BB6_3 Depth=1
	s_andn2_b64 vcc, exec, s[30:31]
	v_mov_b32_e32 v4, 0
	v_mov_b32_e32 v6, 0
	;; [unrolled: 1-line block ×3, first 2 shown]
	s_cbranch_vccnz .LBB6_9
; %bb.5:                                ;   in Loop: Header=BB6_3 Depth=1
	v_mov_b32_e32 v0, 0
	s_mov_b32 s22, s9
	s_mov_b64 s[50:51], s[0:1]
	v_mov_b32_e32 v5, v2
	v_mov_b32_e32 v6, v0
	;; [unrolled: 1-line block ×3, first 2 shown]
.LBB6_6:                                ;   Parent Loop BB6_3 Depth=1
                                        ; =>  This Inner Loop Header: Depth=2
	s_mov_b64 s[60:61], s[50:51]
	s_load_dwordx4 s[52:55], s[60:61], 0x18
	s_load_dwordx2 s[62:63], s[60:61], 0x28
	s_load_dwordx2 s[64:65], s[60:61], 0xe8
	s_load_dwordx4 s[56:59], s[60:61], 0xd8
	s_add_u32 s50, s60, 24
	s_waitcnt lgkmcnt(0)
	v_mul_hi_u32 v7, s53, v5
	v_add_u32_e32 v7, v5, v7
	v_lshrrev_b32_e32 v7, s54, v7
	v_mul_lo_u32 v8, v7, s52
	v_mul_hi_u32 v9, s62, v7
	v_sub_u32_e32 v5, v5, v8
	v_add_u32_e32 v8, v7, v9
	v_mul_lo_u32 v9, v5, s56
	v_mul_lo_u32 v10, v5, s57
	;; [unrolled: 1-line block ×3, first 2 shown]
	v_lshrrev_b32_e32 v5, s63, v8
	v_mul_lo_u32 v8, v5, s55
	v_sub_u32_e32 v7, v7, v8
	s_addc_u32 s51, s61, 0
	s_add_i32 s22, s22, -2
	v_mul_lo_u32 v8, v7, s59
	v_mul_lo_u32 v12, v7, s64
	;; [unrolled: 1-line block ×3, first 2 shown]
	s_cmp_lg_u32 s22, 0
	v_add3_u32 v0, v9, v0, v8
	v_add3_u32 v4, v11, v4, v7
	;; [unrolled: 1-line block ×3, first 2 shown]
	s_cbranch_scc1 .LBB6_6
; %bb.7:                                ;   in Loop: Header=BB6_3 Depth=1
	s_andn2_b64 vcc, exec, s[40:41]
	s_cbranch_vccnz .LBB6_9
; %bb.8:                                ;   in Loop: Header=BB6_3 Depth=1
	s_load_dwordx2 s[52:53], s[50:51], 0x18
	s_load_dword s22, s[50:51], 0x20
	s_load_dword s33, s[50:51], 0xe0
	s_nop 0
	s_load_dwordx2 s[50:51], s[50:51], 0xd8
	s_waitcnt lgkmcnt(0)
	v_mul_hi_u32 v7, s53, v5
	v_add_u32_e32 v7, v5, v7
	v_lshrrev_b32_e32 v7, s22, v7
	v_mul_lo_u32 v7, v7, s52
	v_sub_u32_e32 v5, v5, v7
	v_mad_u64_u32 v[8:9], s[52:53], v5, s50, v[0:1]
	v_mad_u64_u32 v[6:7], s[50:51], v5, s51, v[6:7]
	;; [unrolled: 1-line block ×3, first 2 shown]
	v_mov_b32_e32 v0, v8
.LBB6_9:                                ;   in Loop: Header=BB6_3 Depth=1
	s_cbranch_execnz .LBB6_2
	s_branch .LBB6_11
.LBB6_10:                               ;   in Loop: Header=BB6_3 Depth=1
                                        ; implicit-def: $vgpr4
                                        ; implicit-def: $vgpr6
.LBB6_11:                               ;   in Loop: Header=BB6_3 Depth=1
	v_mul_hi_u32 v0, v2, s6
	v_add_u32_e32 v0, v0, v2
	v_lshrrev_b32_e32 v5, s7, v0
	v_mul_lo_u32 v0, v5, s5
	v_sub_u32_e32 v6, v2, v0
	v_mul_lo_u32 v0, v6, s20
	v_mul_lo_u32 v4, v6, s21
	s_andn2_b64 vcc, exec, s[36:37]
	v_mul_lo_u32 v6, v6, s11
	s_cbranch_vccnz .LBB6_2
; %bb.12:                               ;   in Loop: Header=BB6_3 Depth=1
	v_mul_hi_u32 v7, s4, v5
	v_add_u32_e32 v7, v5, v7
	v_lshrrev_b32_e32 v7, s10, v7
	v_mul_lo_u32 v7, v7, s8
	v_sub_u32_e32 v5, v5, v7
	v_mad_u64_u32 v[8:9], s[50:51], v5, s23, v[0:1]
	v_mad_u64_u32 v[6:7], s[50:51], v5, s34, v[6:7]
	v_mad_u64_u32 v[4:5], s[50:51], v5, s35, v[4:5]
	v_mov_b32_e32 v0, v8
	s_branch .LBB6_2
.LBB6_13:
	s_endpgm
	.section	.rodata,"a",@progbits
	.p2align	6, 0x0
	.amdhsa_kernel _ZN2at6native12cross_kernelIl16OffsetCalculatorILi3EjLb0EElEEviPT_PKS4_S7_T0_T1_S9_S9_
		.amdhsa_group_segment_fixed_size 0
		.amdhsa_private_segment_fixed_size 0
		.amdhsa_kernarg_size 704
		.amdhsa_user_sgpr_count 2
		.amdhsa_user_sgpr_dispatch_ptr 0
		.amdhsa_user_sgpr_queue_ptr 0
		.amdhsa_user_sgpr_kernarg_segment_ptr 1
		.amdhsa_user_sgpr_dispatch_id 0
		.amdhsa_user_sgpr_kernarg_preload_length 0
		.amdhsa_user_sgpr_kernarg_preload_offset 0
		.amdhsa_user_sgpr_private_segment_size 0
		.amdhsa_uses_dynamic_stack 0
		.amdhsa_enable_private_segment 0
		.amdhsa_system_sgpr_workgroup_id_x 1
		.amdhsa_system_sgpr_workgroup_id_y 0
		.amdhsa_system_sgpr_workgroup_id_z 0
		.amdhsa_system_sgpr_workgroup_info 0
		.amdhsa_system_vgpr_workitem_id 0
		.amdhsa_next_free_vgpr 32
		.amdhsa_next_free_sgpr 66
		.amdhsa_accum_offset 32
		.amdhsa_reserve_vcc 1
		.amdhsa_float_round_mode_32 0
		.amdhsa_float_round_mode_16_64 0
		.amdhsa_float_denorm_mode_32 3
		.amdhsa_float_denorm_mode_16_64 3
		.amdhsa_dx10_clamp 1
		.amdhsa_ieee_mode 1
		.amdhsa_fp16_overflow 0
		.amdhsa_tg_split 0
		.amdhsa_exception_fp_ieee_invalid_op 0
		.amdhsa_exception_fp_denorm_src 0
		.amdhsa_exception_fp_ieee_div_zero 0
		.amdhsa_exception_fp_ieee_overflow 0
		.amdhsa_exception_fp_ieee_underflow 0
		.amdhsa_exception_fp_ieee_inexact 0
		.amdhsa_exception_int_div_zero 0
	.end_amdhsa_kernel
	.section	.text._ZN2at6native12cross_kernelIl16OffsetCalculatorILi3EjLb0EElEEviPT_PKS4_S7_T0_T1_S9_S9_,"axG",@progbits,_ZN2at6native12cross_kernelIl16OffsetCalculatorILi3EjLb0EElEEviPT_PKS4_S7_T0_T1_S9_S9_,comdat
.Lfunc_end6:
	.size	_ZN2at6native12cross_kernelIl16OffsetCalculatorILi3EjLb0EElEEviPT_PKS4_S7_T0_T1_S9_S9_, .Lfunc_end6-_ZN2at6native12cross_kernelIl16OffsetCalculatorILi3EjLb0EElEEviPT_PKS4_S7_T0_T1_S9_S9_
                                        ; -- End function
	.section	.AMDGPU.csdata,"",@progbits
; Kernel info:
; codeLenInByte = 1140
; NumSgprs: 72
; NumVgprs: 32
; NumAgprs: 0
; TotalNumVgprs: 32
; ScratchSize: 0
; MemoryBound: 0
; FloatMode: 240
; IeeeMode: 1
; LDSByteSize: 0 bytes/workgroup (compile time only)
; SGPRBlocks: 8
; VGPRBlocks: 3
; NumSGPRsForWavesPerEU: 72
; NumVGPRsForWavesPerEU: 32
; AccumOffset: 32
; Occupancy: 8
; WaveLimiterHint : 1
; COMPUTE_PGM_RSRC2:SCRATCH_EN: 0
; COMPUTE_PGM_RSRC2:USER_SGPR: 2
; COMPUTE_PGM_RSRC2:TRAP_HANDLER: 0
; COMPUTE_PGM_RSRC2:TGID_X_EN: 1
; COMPUTE_PGM_RSRC2:TGID_Y_EN: 0
; COMPUTE_PGM_RSRC2:TGID_Z_EN: 0
; COMPUTE_PGM_RSRC2:TIDIG_COMP_CNT: 0
; COMPUTE_PGM_RSRC3_GFX90A:ACCUM_OFFSET: 7
; COMPUTE_PGM_RSRC3_GFX90A:TG_SPLIT: 0
	.section	.text._ZN2at6native12cross_kernelIl16OffsetCalculatorILi3EjLb0EEiEEviPT_PKS4_S7_T0_T1_S9_S9_,"axG",@progbits,_ZN2at6native12cross_kernelIl16OffsetCalculatorILi3EjLb0EEiEEviPT_PKS4_S7_T0_T1_S9_S9_,comdat
	.protected	_ZN2at6native12cross_kernelIl16OffsetCalculatorILi3EjLb0EEiEEviPT_PKS4_S7_T0_T1_S9_S9_ ; -- Begin function _ZN2at6native12cross_kernelIl16OffsetCalculatorILi3EjLb0EEiEEviPT_PKS4_S7_T0_T1_S9_S9_
	.globl	_ZN2at6native12cross_kernelIl16OffsetCalculatorILi3EjLb0EEiEEviPT_PKS4_S7_T0_T1_S9_S9_
	.p2align	8
	.type	_ZN2at6native12cross_kernelIl16OffsetCalculatorILi3EjLb0EEiEEviPT_PKS4_S7_T0_T1_S9_S9_,@function
_ZN2at6native12cross_kernelIl16OffsetCalculatorILi3EjLb0EEiEEviPT_PKS4_S7_T0_T1_S9_S9_: ; @_ZN2at6native12cross_kernelIl16OffsetCalculatorILi3EjLb0EEiEEviPT_PKS4_S7_T0_T1_S9_S9_
; %bb.0:
	s_load_dword s24, s[0:1], 0x0
	s_load_dword s3, s[0:1], 0x1bc
	v_mov_b32_e32 v1, 0
	v_mov_b32_e32 v2, s2
	s_waitcnt lgkmcnt(0)
	s_ashr_i32 s25, s24, 31
	s_add_u32 s20, s0, 0x1b0
	s_addc_u32 s21, s1, 0
	s_and_b32 s28, s3, 0xffff
	v_mad_u64_u32 v[2:3], s[2:3], s28, v2, v[0:1]
	v_cmp_gt_i64_e32 vcc, s[24:25], v[2:3]
	s_and_saveexec_b64 s[2:3], vcc
	s_cbranch_execz .LBB7_13
; %bb.1:
	s_load_dwordx8 s[4:11], s[0:1], 0x20
	s_load_dwordx4 s[12:15], s[0:1], 0x8
	s_load_dwordx2 s[2:3], s[0:1], 0x18
	s_load_dwordx4 s[16:19], s[0:1], 0x1a4
	s_waitcnt lgkmcnt(0)
	s_load_dword s19, s[20:21], 0x0
	s_add_i32 s11, s4, -1
	s_cmp_gt_u32 s11, 1
	s_cselect_b64 s[26:27], -1, 0
	s_cmp_lg_u32 s4, 0
	s_cselect_b64 s[30:31], -1, 0
	s_min_u32 s33, s11, 15
	s_cmp_gt_u32 s4, 1
	s_cselect_b64 s[36:37], -1, 0
	s_mov_b32 s4, s9
	s_lshl_b32 s40, s18, 1
	s_add_i32 s9, s33, 1
	s_ashr_i32 s39, s17, 31
	s_mov_b32 s38, s17
	s_ashr_i32 s41, s40, 31
	s_ashr_i32 s17, s16, 31
	s_and_b32 s9, s9, 30
	s_bitcmp0_b32 s33, 0
                                        ; kill: killed $sgpr20 killed $sgpr21
	s_load_dwordx4 s[20:23], s[0:1], 0xe4
	s_load_dwordx2 s[34:35], s[0:1], 0xf4
	s_waitcnt lgkmcnt(0)
	s_mul_i32 s28, s19, s28
	s_cselect_b64 s[42:43], -1, 0
	s_ashr_i32 s19, s18, 31
	s_lshl_b64 s[44:45], s[38:39], 3
	s_lshl_b64 s[46:47], s[18:19], 3
	s_sub_u32 s46, 0, s46
	s_subb_u32 s47, 0, s47
	s_lshl_b64 s[48:49], s[16:17], 3
	s_add_u32 s0, s0, 12
	s_mov_b32 s29, 0
	s_mov_b32 s11, s21
	;; [unrolled: 1-line block ×3, first 2 shown]
	s_mov_b64 s[18:19], 0
	s_addc_u32 s1, s1, 0
	s_branch .LBB7_3
.LBB7_2:                                ;   in Loop: Header=BB7_3 Depth=1
	v_mov_b32_e32 v7, v1
	v_mov_b32_e32 v5, v1
	v_lshl_add_u64 v[6:7], v[6:7], 3, s[14:15]
	v_lshl_add_u64 v[4:5], v[4:5], 3, s[2:3]
	;; [unrolled: 1-line block ×4, first 2 shown]
	global_load_dwordx2 v[10:11], v[8:9], off
	global_load_dwordx2 v[14:15], v[12:13], off
	;; [unrolled: 1-line block ×4, first 2 shown]
	v_lshl_add_u64 v[4:5], v[8:9], 0, s[44:45]
	v_lshl_add_u64 v[6:7], v[12:13], 0, s[46:47]
	global_load_dwordx2 v[8:9], v[4:5], off
	global_load_dwordx2 v[12:13], v[6:7], off
	v_lshl_add_u64 v[4:5], v[0:1], 3, s[12:13]
	v_lshl_add_u64 v[2:3], v[2:3], 0, s[28:29]
	v_cmp_le_i64_e32 vcc, s[24:25], v[2:3]
	s_or_b64 s[18:19], vcc, s[18:19]
	v_lshl_add_u64 v[6:7], s[16:17], 3, v[4:5]
	v_lshl_add_u64 v[20:21], v[6:7], 0, s[48:49]
	s_waitcnt vmcnt(3)
	v_mul_lo_u32 v26, v17, v14
	v_mul_lo_u32 v0, v15, v10
	;; [unrolled: 1-line block ×3, first 2 shown]
	v_mad_u64_u32 v[22:23], s[50:51], v14, v10, 0
	v_add3_u32 v0, v23, v24, v0
	s_waitcnt vmcnt(0)
	v_mul_lo_u32 v23, v13, v8
	v_mul_lo_u32 v30, v12, v9
	v_mad_u64_u32 v[24:25], s[50:51], v12, v8, 0
	v_mul_lo_u32 v27, v16, v15
	v_mad_u64_u32 v[14:15], s[50:51], v16, v14, 0
	v_mul_lo_u32 v28, v19, v10
	v_mul_lo_u32 v29, v18, v11
	v_mad_u64_u32 v[10:11], s[50:51], v18, v10, 0
	v_mul_lo_u32 v19, v19, v8
	;; [unrolled: 3-line block ×3, first 2 shown]
	v_mul_lo_u32 v18, v16, v13
	v_mad_u64_u32 v[12:13], s[50:51], v16, v12, 0
	v_add3_u32 v23, v25, v30, v23
	v_sub_co_u32_e32 v16, vcc, v22, v24
	v_add3_u32 v13, v13, v18, v17
	s_nop 0
	v_subb_co_u32_e32 v17, vcc, v0, v23, vcc
	v_add3_u32 v15, v15, v27, v26
	v_add3_u32 v9, v9, v31, v19
	v_sub_co_u32_e32 v8, vcc, v8, v14
	v_add3_u32 v11, v11, v29, v28
	s_nop 0
	v_subb_co_u32_e32 v9, vcc, v9, v15, vcc
	v_sub_co_u32_e32 v10, vcc, v12, v10
	s_nop 1
	v_subb_co_u32_e32 v11, vcc, v13, v11, vcc
	global_store_dwordx2 v[4:5], v[16:17], off
	global_store_dwordx2 v[6:7], v[8:9], off
	;; [unrolled: 1-line block ×3, first 2 shown]
	s_andn2_b64 exec, exec, s[18:19]
	s_cbranch_execz .LBB7_13
.LBB7_3:                                ; =>This Loop Header: Depth=1
                                        ;     Child Loop BB7_6 Depth 2
	s_andn2_b64 vcc, exec, s[26:27]
	s_cbranch_vccnz .LBB7_10
; %bb.4:                                ;   in Loop: Header=BB7_3 Depth=1
	s_andn2_b64 vcc, exec, s[30:31]
	v_mov_b32_e32 v4, 0
	v_mov_b32_e32 v6, 0
	;; [unrolled: 1-line block ×3, first 2 shown]
	s_cbranch_vccnz .LBB7_9
; %bb.5:                                ;   in Loop: Header=BB7_3 Depth=1
	v_mov_b32_e32 v0, 0
	s_mov_b32 s22, s9
	s_mov_b64 s[50:51], s[0:1]
	v_mov_b32_e32 v5, v2
	v_mov_b32_e32 v6, v0
	;; [unrolled: 1-line block ×3, first 2 shown]
.LBB7_6:                                ;   Parent Loop BB7_3 Depth=1
                                        ; =>  This Inner Loop Header: Depth=2
	s_mov_b64 s[60:61], s[50:51]
	s_load_dwordx4 s[52:55], s[60:61], 0x18
	s_load_dwordx2 s[62:63], s[60:61], 0x28
	s_load_dwordx2 s[64:65], s[60:61], 0xe8
	s_load_dwordx4 s[56:59], s[60:61], 0xd8
	s_add_u32 s50, s60, 24
	s_waitcnt lgkmcnt(0)
	v_mul_hi_u32 v7, s53, v5
	v_add_u32_e32 v7, v5, v7
	v_lshrrev_b32_e32 v7, s54, v7
	v_mul_lo_u32 v8, v7, s52
	v_mul_hi_u32 v9, s62, v7
	v_sub_u32_e32 v5, v5, v8
	v_add_u32_e32 v8, v7, v9
	v_mul_lo_u32 v9, v5, s56
	v_mul_lo_u32 v10, v5, s57
	;; [unrolled: 1-line block ×3, first 2 shown]
	v_lshrrev_b32_e32 v5, s63, v8
	v_mul_lo_u32 v8, v5, s55
	v_sub_u32_e32 v7, v7, v8
	s_addc_u32 s51, s61, 0
	s_add_i32 s22, s22, -2
	v_mul_lo_u32 v8, v7, s59
	v_mul_lo_u32 v12, v7, s64
	;; [unrolled: 1-line block ×3, first 2 shown]
	s_cmp_lg_u32 s22, 0
	v_add3_u32 v0, v9, v0, v8
	v_add3_u32 v4, v11, v4, v7
	;; [unrolled: 1-line block ×3, first 2 shown]
	s_cbranch_scc1 .LBB7_6
; %bb.7:                                ;   in Loop: Header=BB7_3 Depth=1
	s_andn2_b64 vcc, exec, s[42:43]
	s_cbranch_vccnz .LBB7_9
; %bb.8:                                ;   in Loop: Header=BB7_3 Depth=1
	s_load_dwordx2 s[52:53], s[50:51], 0x18
	s_load_dword s22, s[50:51], 0x20
	s_load_dword s33, s[50:51], 0xe0
	s_nop 0
	s_load_dwordx2 s[50:51], s[50:51], 0xd8
	s_waitcnt lgkmcnt(0)
	v_mul_hi_u32 v7, s53, v5
	v_add_u32_e32 v7, v5, v7
	v_lshrrev_b32_e32 v7, s22, v7
	v_mul_lo_u32 v7, v7, s52
	v_sub_u32_e32 v5, v5, v7
	v_mad_u64_u32 v[8:9], s[52:53], v5, s50, v[0:1]
	v_mad_u64_u32 v[6:7], s[50:51], v5, s51, v[6:7]
	;; [unrolled: 1-line block ×3, first 2 shown]
	v_mov_b32_e32 v0, v8
.LBB7_9:                                ;   in Loop: Header=BB7_3 Depth=1
	s_cbranch_execnz .LBB7_2
	s_branch .LBB7_11
.LBB7_10:                               ;   in Loop: Header=BB7_3 Depth=1
                                        ; implicit-def: $vgpr4
                                        ; implicit-def: $vgpr6
.LBB7_11:                               ;   in Loop: Header=BB7_3 Depth=1
	v_mul_hi_u32 v0, v2, s6
	v_add_u32_e32 v0, v0, v2
	v_lshrrev_b32_e32 v5, s7, v0
	v_mul_lo_u32 v0, v5, s5
	v_sub_u32_e32 v6, v2, v0
	v_mul_lo_u32 v0, v6, s20
	v_mul_lo_u32 v4, v6, s21
	s_andn2_b64 vcc, exec, s[36:37]
	v_mul_lo_u32 v6, v6, s11
	s_cbranch_vccnz .LBB7_2
; %bb.12:                               ;   in Loop: Header=BB7_3 Depth=1
	v_mul_hi_u32 v7, s4, v5
	v_add_u32_e32 v7, v5, v7
	v_lshrrev_b32_e32 v7, s10, v7
	v_mul_lo_u32 v7, v7, s8
	v_sub_u32_e32 v5, v5, v7
	v_mad_u64_u32 v[8:9], s[50:51], v5, s23, v[0:1]
	v_mad_u64_u32 v[6:7], s[50:51], v5, s34, v[6:7]
	;; [unrolled: 1-line block ×3, first 2 shown]
	v_mov_b32_e32 v0, v8
	s_branch .LBB7_2
.LBB7_13:
	s_endpgm
	.section	.rodata,"a",@progbits
	.p2align	6, 0x0
	.amdhsa_kernel _ZN2at6native12cross_kernelIl16OffsetCalculatorILi3EjLb0EEiEEviPT_PKS4_S7_T0_T1_S9_S9_
		.amdhsa_group_segment_fixed_size 0
		.amdhsa_private_segment_fixed_size 0
		.amdhsa_kernarg_size 688
		.amdhsa_user_sgpr_count 2
		.amdhsa_user_sgpr_dispatch_ptr 0
		.amdhsa_user_sgpr_queue_ptr 0
		.amdhsa_user_sgpr_kernarg_segment_ptr 1
		.amdhsa_user_sgpr_dispatch_id 0
		.amdhsa_user_sgpr_kernarg_preload_length 0
		.amdhsa_user_sgpr_kernarg_preload_offset 0
		.amdhsa_user_sgpr_private_segment_size 0
		.amdhsa_uses_dynamic_stack 0
		.amdhsa_enable_private_segment 0
		.amdhsa_system_sgpr_workgroup_id_x 1
		.amdhsa_system_sgpr_workgroup_id_y 0
		.amdhsa_system_sgpr_workgroup_id_z 0
		.amdhsa_system_sgpr_workgroup_info 0
		.amdhsa_system_vgpr_workitem_id 0
		.amdhsa_next_free_vgpr 32
		.amdhsa_next_free_sgpr 66
		.amdhsa_accum_offset 32
		.amdhsa_reserve_vcc 1
		.amdhsa_float_round_mode_32 0
		.amdhsa_float_round_mode_16_64 0
		.amdhsa_float_denorm_mode_32 3
		.amdhsa_float_denorm_mode_16_64 3
		.amdhsa_dx10_clamp 1
		.amdhsa_ieee_mode 1
		.amdhsa_fp16_overflow 0
		.amdhsa_tg_split 0
		.amdhsa_exception_fp_ieee_invalid_op 0
		.amdhsa_exception_fp_denorm_src 0
		.amdhsa_exception_fp_ieee_div_zero 0
		.amdhsa_exception_fp_ieee_overflow 0
		.amdhsa_exception_fp_ieee_underflow 0
		.amdhsa_exception_fp_ieee_inexact 0
		.amdhsa_exception_int_div_zero 0
	.end_amdhsa_kernel
	.section	.text._ZN2at6native12cross_kernelIl16OffsetCalculatorILi3EjLb0EEiEEviPT_PKS4_S7_T0_T1_S9_S9_,"axG",@progbits,_ZN2at6native12cross_kernelIl16OffsetCalculatorILi3EjLb0EEiEEviPT_PKS4_S7_T0_T1_S9_S9_,comdat
.Lfunc_end7:
	.size	_ZN2at6native12cross_kernelIl16OffsetCalculatorILi3EjLb0EEiEEviPT_PKS4_S7_T0_T1_S9_S9_, .Lfunc_end7-_ZN2at6native12cross_kernelIl16OffsetCalculatorILi3EjLb0EEiEEviPT_PKS4_S7_T0_T1_S9_S9_
                                        ; -- End function
	.section	.AMDGPU.csdata,"",@progbits
; Kernel info:
; codeLenInByte = 1152
; NumSgprs: 72
; NumVgprs: 32
; NumAgprs: 0
; TotalNumVgprs: 32
; ScratchSize: 0
; MemoryBound: 0
; FloatMode: 240
; IeeeMode: 1
; LDSByteSize: 0 bytes/workgroup (compile time only)
; SGPRBlocks: 8
; VGPRBlocks: 3
; NumSGPRsForWavesPerEU: 72
; NumVGPRsForWavesPerEU: 32
; AccumOffset: 32
; Occupancy: 8
; WaveLimiterHint : 1
; COMPUTE_PGM_RSRC2:SCRATCH_EN: 0
; COMPUTE_PGM_RSRC2:USER_SGPR: 2
; COMPUTE_PGM_RSRC2:TRAP_HANDLER: 0
; COMPUTE_PGM_RSRC2:TGID_X_EN: 1
; COMPUTE_PGM_RSRC2:TGID_Y_EN: 0
; COMPUTE_PGM_RSRC2:TGID_Z_EN: 0
; COMPUTE_PGM_RSRC2:TIDIG_COMP_CNT: 0
; COMPUTE_PGM_RSRC3_GFX90A:ACCUM_OFFSET: 7
; COMPUTE_PGM_RSRC3_GFX90A:TG_SPLIT: 0
	.section	.text._ZN2at6native12cross_kernelIs16OffsetCalculatorILi3EjLb0EElEEviPT_PKS4_S7_T0_T1_S9_S9_,"axG",@progbits,_ZN2at6native12cross_kernelIs16OffsetCalculatorILi3EjLb0EElEEviPT_PKS4_S7_T0_T1_S9_S9_,comdat
	.protected	_ZN2at6native12cross_kernelIs16OffsetCalculatorILi3EjLb0EElEEviPT_PKS4_S7_T0_T1_S9_S9_ ; -- Begin function _ZN2at6native12cross_kernelIs16OffsetCalculatorILi3EjLb0EElEEviPT_PKS4_S7_T0_T1_S9_S9_
	.globl	_ZN2at6native12cross_kernelIs16OffsetCalculatorILi3EjLb0EElEEviPT_PKS4_S7_T0_T1_S9_S9_
	.p2align	8
	.type	_ZN2at6native12cross_kernelIs16OffsetCalculatorILi3EjLb0EElEEviPT_PKS4_S7_T0_T1_S9_S9_,@function
_ZN2at6native12cross_kernelIs16OffsetCalculatorILi3EjLb0EElEEviPT_PKS4_S7_T0_T1_S9_S9_: ; @_ZN2at6native12cross_kernelIs16OffsetCalculatorILi3EjLb0EElEEviPT_PKS4_S7_T0_T1_S9_S9_
; %bb.0:
	s_load_dword s24, s[0:1], 0x0
	s_load_dword s3, s[0:1], 0x1cc
	v_mov_b32_e32 v1, 0
	v_mov_b32_e32 v2, s2
	s_waitcnt lgkmcnt(0)
	s_ashr_i32 s25, s24, 31
	s_add_u32 s20, s0, 0x1c0
	s_addc_u32 s21, s1, 0
	s_and_b32 s28, s3, 0xffff
	v_mad_u64_u32 v[2:3], s[2:3], s28, v2, v[0:1]
	v_cmp_gt_i64_e32 vcc, s[24:25], v[2:3]
	s_and_saveexec_b64 s[2:3], vcc
	s_cbranch_execz .LBB8_13
; %bb.1:
	s_load_dwordx8 s[4:11], s[0:1], 0x20
	s_load_dwordx4 s[12:15], s[0:1], 0x8
	s_load_dwordx2 s[2:3], s[0:1], 0x18
	s_load_dwordx2 s[44:45], s[0:1], 0x1b8
	s_load_dwordx4 s[16:19], s[0:1], 0x1a8
	s_load_dword s33, s[20:21], 0x0
	s_waitcnt lgkmcnt(0)
	s_add_i32 s11, s4, -1
	s_cmp_gt_u32 s11, 1
	s_cselect_b64 s[26:27], -1, 0
	s_cmp_lg_u32 s4, 0
	s_cselect_b64 s[30:31], -1, 0
	s_min_u32 s40, s11, 15
	s_cmp_gt_u32 s4, 1
	s_cselect_b64 s[36:37], -1, 0
	s_mov_b32 s4, s9
	s_add_i32 s9, s40, 1
	s_lshl_b64 s[38:39], s[44:45], 2
	s_and_b32 s9, s9, 30
	s_load_dwordx4 s[20:23], s[0:1], 0xe4
	s_load_dwordx2 s[34:35], s[0:1], 0xf4
	s_bitcmp0_b32 s40, 0
	s_cselect_b64 s[40:41], -1, 0
	s_lshl_b64 s[42:43], s[18:19], 1
	s_lshl_b64 s[46:47], s[44:45], 1
	s_sub_u32 s46, 0, s46
	s_subb_u32 s47, 0, s47
	s_lshl_b64 s[48:49], s[16:17], 1
	s_add_u32 s0, s0, 12
	s_mov_b32 s29, 0
	s_waitcnt lgkmcnt(0)
	s_mov_b32 s11, s21
	s_mov_b32 s21, s22
	s_mul_i32 s28, s33, s28
	s_mov_b64 s[44:45], 0
	s_addc_u32 s1, s1, 0
	s_branch .LBB8_3
.LBB8_2:                                ;   in Loop: Header=BB8_3 Depth=1
	v_mov_b32_e32 v7, v1
	v_lshl_add_u64 v[6:7], v[6:7], 1, s[14:15]
	v_mov_b32_e32 v5, v1
	v_lshl_add_u64 v[4:5], v[4:5], 1, s[2:3]
	v_lshl_add_u64 v[8:9], s[18:19], 1, v[6:7]
	global_load_ushort v12, v[8:9], off
	v_lshl_add_u64 v[10:11], v[4:5], 0, s[38:39]
	v_lshl_add_u64 v[8:9], v[8:9], 0, s[42:43]
	global_load_ushort v13, v[10:11], off
	global_load_ushort v14, v[8:9], off
	v_lshl_add_u64 v[8:9], v[10:11], 0, s[46:47]
	global_load_ushort v10, v[6:7], off
	global_load_ushort v11, v[4:5], off
	;; [unrolled: 1-line block ×3, first 2 shown]
	v_lshl_add_u64 v[2:3], v[2:3], 0, s[28:29]
	v_lshl_add_u64 v[4:5], v[0:1], 1, s[12:13]
	v_cmp_le_i64_e32 vcc, s[24:25], v[2:3]
	v_lshl_add_u64 v[6:7], s[16:17], 1, v[4:5]
	s_or_b64 s[44:45], vcc, s[44:45]
	v_lshl_add_u64 v[8:9], v[6:7], 0, s[48:49]
	s_waitcnt vmcnt(4)
	v_mul_lo_u16_e32 v0, v13, v12
	s_waitcnt vmcnt(2)
	v_mul_lo_u16_e32 v13, v10, v13
	;; [unrolled: 2-line block ×4, first 2 shown]
	v_mul_lo_u16_e32 v11, v11, v14
	v_mul_lo_u16_e32 v10, v10, v15
	v_sub_u16_e32 v0, v0, v16
	v_sub_u16_e32 v11, v11, v13
	;; [unrolled: 1-line block ×3, first 2 shown]
	global_store_short v[4:5], v0, off
	global_store_short v[6:7], v11, off
	;; [unrolled: 1-line block ×3, first 2 shown]
	s_andn2_b64 exec, exec, s[44:45]
	s_cbranch_execz .LBB8_13
.LBB8_3:                                ; =>This Loop Header: Depth=1
                                        ;     Child Loop BB8_6 Depth 2
	s_andn2_b64 vcc, exec, s[26:27]
	s_cbranch_vccnz .LBB8_10
; %bb.4:                                ;   in Loop: Header=BB8_3 Depth=1
	s_andn2_b64 vcc, exec, s[30:31]
	v_mov_b32_e32 v4, 0
	v_mov_b32_e32 v6, 0
	;; [unrolled: 1-line block ×3, first 2 shown]
	s_cbranch_vccnz .LBB8_9
; %bb.5:                                ;   in Loop: Header=BB8_3 Depth=1
	v_mov_b32_e32 v0, 0
	s_mov_b32 s22, s9
	s_mov_b64 s[50:51], s[0:1]
	v_mov_b32_e32 v5, v2
	v_mov_b32_e32 v6, v0
	v_mov_b32_e32 v4, v0
.LBB8_6:                                ;   Parent Loop BB8_3 Depth=1
                                        ; =>  This Inner Loop Header: Depth=2
	s_mov_b64 s[60:61], s[50:51]
	s_load_dwordx4 s[52:55], s[60:61], 0x18
	s_load_dwordx2 s[62:63], s[60:61], 0x28
	s_load_dwordx2 s[64:65], s[60:61], 0xe8
	s_load_dwordx4 s[56:59], s[60:61], 0xd8
	s_add_u32 s50, s60, 24
	s_waitcnt lgkmcnt(0)
	v_mul_hi_u32 v7, s53, v5
	v_add_u32_e32 v7, v5, v7
	v_lshrrev_b32_e32 v7, s54, v7
	v_mul_lo_u32 v8, v7, s52
	v_mul_hi_u32 v9, s62, v7
	v_sub_u32_e32 v5, v5, v8
	v_add_u32_e32 v8, v7, v9
	v_mul_lo_u32 v9, v5, s56
	v_mul_lo_u32 v10, v5, s57
	v_mul_lo_u32 v11, v5, s58
	v_lshrrev_b32_e32 v5, s63, v8
	v_mul_lo_u32 v8, v5, s55
	v_sub_u32_e32 v7, v7, v8
	s_addc_u32 s51, s61, 0
	s_add_i32 s22, s22, -2
	v_mul_lo_u32 v8, v7, s59
	v_mul_lo_u32 v12, v7, s64
	;; [unrolled: 1-line block ×3, first 2 shown]
	s_cmp_lg_u32 s22, 0
	v_add3_u32 v0, v9, v0, v8
	v_add3_u32 v4, v11, v4, v7
	;; [unrolled: 1-line block ×3, first 2 shown]
	s_cbranch_scc1 .LBB8_6
; %bb.7:                                ;   in Loop: Header=BB8_3 Depth=1
	s_andn2_b64 vcc, exec, s[40:41]
	s_cbranch_vccnz .LBB8_9
; %bb.8:                                ;   in Loop: Header=BB8_3 Depth=1
	s_load_dwordx2 s[52:53], s[50:51], 0x18
	s_load_dword s22, s[50:51], 0x20
	s_load_dword s33, s[50:51], 0xe0
	s_nop 0
	s_load_dwordx2 s[50:51], s[50:51], 0xd8
	s_waitcnt lgkmcnt(0)
	v_mul_hi_u32 v7, s53, v5
	v_add_u32_e32 v7, v5, v7
	v_lshrrev_b32_e32 v7, s22, v7
	v_mul_lo_u32 v7, v7, s52
	v_sub_u32_e32 v5, v5, v7
	v_mad_u64_u32 v[8:9], s[52:53], v5, s50, v[0:1]
	v_mad_u64_u32 v[6:7], s[50:51], v5, s51, v[6:7]
	;; [unrolled: 1-line block ×3, first 2 shown]
	v_mov_b32_e32 v0, v8
.LBB8_9:                                ;   in Loop: Header=BB8_3 Depth=1
	s_cbranch_execnz .LBB8_2
	s_branch .LBB8_11
.LBB8_10:                               ;   in Loop: Header=BB8_3 Depth=1
                                        ; implicit-def: $vgpr4
                                        ; implicit-def: $vgpr6
.LBB8_11:                               ;   in Loop: Header=BB8_3 Depth=1
	v_mul_hi_u32 v0, v2, s6
	v_add_u32_e32 v0, v0, v2
	v_lshrrev_b32_e32 v5, s7, v0
	v_mul_lo_u32 v0, v5, s5
	v_sub_u32_e32 v6, v2, v0
	v_mul_lo_u32 v0, v6, s20
	v_mul_lo_u32 v4, v6, s21
	s_andn2_b64 vcc, exec, s[36:37]
	v_mul_lo_u32 v6, v6, s11
	s_cbranch_vccnz .LBB8_2
; %bb.12:                               ;   in Loop: Header=BB8_3 Depth=1
	v_mul_hi_u32 v7, s4, v5
	v_add_u32_e32 v7, v5, v7
	v_lshrrev_b32_e32 v7, s10, v7
	v_mul_lo_u32 v7, v7, s8
	v_sub_u32_e32 v5, v5, v7
	v_mad_u64_u32 v[8:9], s[50:51], v5, s23, v[0:1]
	v_mad_u64_u32 v[6:7], s[50:51], v5, s34, v[6:7]
	;; [unrolled: 1-line block ×3, first 2 shown]
	v_mov_b32_e32 v0, v8
	s_branch .LBB8_2
.LBB8_13:
	s_endpgm
	.section	.rodata,"a",@progbits
	.p2align	6, 0x0
	.amdhsa_kernel _ZN2at6native12cross_kernelIs16OffsetCalculatorILi3EjLb0EElEEviPT_PKS4_S7_T0_T1_S9_S9_
		.amdhsa_group_segment_fixed_size 0
		.amdhsa_private_segment_fixed_size 0
		.amdhsa_kernarg_size 704
		.amdhsa_user_sgpr_count 2
		.amdhsa_user_sgpr_dispatch_ptr 0
		.amdhsa_user_sgpr_queue_ptr 0
		.amdhsa_user_sgpr_kernarg_segment_ptr 1
		.amdhsa_user_sgpr_dispatch_id 0
		.amdhsa_user_sgpr_kernarg_preload_length 0
		.amdhsa_user_sgpr_kernarg_preload_offset 0
		.amdhsa_user_sgpr_private_segment_size 0
		.amdhsa_uses_dynamic_stack 0
		.amdhsa_enable_private_segment 0
		.amdhsa_system_sgpr_workgroup_id_x 1
		.amdhsa_system_sgpr_workgroup_id_y 0
		.amdhsa_system_sgpr_workgroup_id_z 0
		.amdhsa_system_sgpr_workgroup_info 0
		.amdhsa_system_vgpr_workitem_id 0
		.amdhsa_next_free_vgpr 17
		.amdhsa_next_free_sgpr 66
		.amdhsa_accum_offset 20
		.amdhsa_reserve_vcc 1
		.amdhsa_float_round_mode_32 0
		.amdhsa_float_round_mode_16_64 0
		.amdhsa_float_denorm_mode_32 3
		.amdhsa_float_denorm_mode_16_64 3
		.amdhsa_dx10_clamp 1
		.amdhsa_ieee_mode 1
		.amdhsa_fp16_overflow 0
		.amdhsa_tg_split 0
		.amdhsa_exception_fp_ieee_invalid_op 0
		.amdhsa_exception_fp_denorm_src 0
		.amdhsa_exception_fp_ieee_div_zero 0
		.amdhsa_exception_fp_ieee_overflow 0
		.amdhsa_exception_fp_ieee_underflow 0
		.amdhsa_exception_fp_ieee_inexact 0
		.amdhsa_exception_int_div_zero 0
	.end_amdhsa_kernel
	.section	.text._ZN2at6native12cross_kernelIs16OffsetCalculatorILi3EjLb0EElEEviPT_PKS4_S7_T0_T1_S9_S9_,"axG",@progbits,_ZN2at6native12cross_kernelIs16OffsetCalculatorILi3EjLb0EElEEviPT_PKS4_S7_T0_T1_S9_S9_,comdat
.Lfunc_end8:
	.size	_ZN2at6native12cross_kernelIs16OffsetCalculatorILi3EjLb0EElEEviPT_PKS4_S7_T0_T1_S9_S9_, .Lfunc_end8-_ZN2at6native12cross_kernelIs16OffsetCalculatorILi3EjLb0EElEEviPT_PKS4_S7_T0_T1_S9_S9_
                                        ; -- End function
	.section	.AMDGPU.csdata,"",@progbits
; Kernel info:
; codeLenInByte = 956
; NumSgprs: 72
; NumVgprs: 17
; NumAgprs: 0
; TotalNumVgprs: 17
; ScratchSize: 0
; MemoryBound: 0
; FloatMode: 240
; IeeeMode: 1
; LDSByteSize: 0 bytes/workgroup (compile time only)
; SGPRBlocks: 8
; VGPRBlocks: 2
; NumSGPRsForWavesPerEU: 72
; NumVGPRsForWavesPerEU: 17
; AccumOffset: 20
; Occupancy: 8
; WaveLimiterHint : 1
; COMPUTE_PGM_RSRC2:SCRATCH_EN: 0
; COMPUTE_PGM_RSRC2:USER_SGPR: 2
; COMPUTE_PGM_RSRC2:TRAP_HANDLER: 0
; COMPUTE_PGM_RSRC2:TGID_X_EN: 1
; COMPUTE_PGM_RSRC2:TGID_Y_EN: 0
; COMPUTE_PGM_RSRC2:TGID_Z_EN: 0
; COMPUTE_PGM_RSRC2:TIDIG_COMP_CNT: 0
; COMPUTE_PGM_RSRC3_GFX90A:ACCUM_OFFSET: 4
; COMPUTE_PGM_RSRC3_GFX90A:TG_SPLIT: 0
	.section	.text._ZN2at6native12cross_kernelIs16OffsetCalculatorILi3EjLb0EEiEEviPT_PKS4_S7_T0_T1_S9_S9_,"axG",@progbits,_ZN2at6native12cross_kernelIs16OffsetCalculatorILi3EjLb0EEiEEviPT_PKS4_S7_T0_T1_S9_S9_,comdat
	.protected	_ZN2at6native12cross_kernelIs16OffsetCalculatorILi3EjLb0EEiEEviPT_PKS4_S7_T0_T1_S9_S9_ ; -- Begin function _ZN2at6native12cross_kernelIs16OffsetCalculatorILi3EjLb0EEiEEviPT_PKS4_S7_T0_T1_S9_S9_
	.globl	_ZN2at6native12cross_kernelIs16OffsetCalculatorILi3EjLb0EEiEEviPT_PKS4_S7_T0_T1_S9_S9_
	.p2align	8
	.type	_ZN2at6native12cross_kernelIs16OffsetCalculatorILi3EjLb0EEiEEviPT_PKS4_S7_T0_T1_S9_S9_,@function
_ZN2at6native12cross_kernelIs16OffsetCalculatorILi3EjLb0EEiEEviPT_PKS4_S7_T0_T1_S9_S9_: ; @_ZN2at6native12cross_kernelIs16OffsetCalculatorILi3EjLb0EEiEEviPT_PKS4_S7_T0_T1_S9_S9_
; %bb.0:
	s_load_dword s24, s[0:1], 0x0
	s_load_dword s3, s[0:1], 0x1bc
	v_mov_b32_e32 v1, 0
	v_mov_b32_e32 v2, s2
	s_waitcnt lgkmcnt(0)
	s_ashr_i32 s25, s24, 31
	s_add_u32 s20, s0, 0x1b0
	s_addc_u32 s21, s1, 0
	s_and_b32 s28, s3, 0xffff
	v_mad_u64_u32 v[2:3], s[2:3], s28, v2, v[0:1]
	v_cmp_gt_i64_e32 vcc, s[24:25], v[2:3]
	s_and_saveexec_b64 s[2:3], vcc
	s_cbranch_execz .LBB9_13
; %bb.1:
	s_load_dwordx8 s[4:11], s[0:1], 0x20
	s_load_dwordx4 s[12:15], s[0:1], 0x8
	s_load_dwordx2 s[2:3], s[0:1], 0x18
	s_load_dwordx4 s[16:19], s[0:1], 0x1a4
	s_waitcnt lgkmcnt(0)
	s_load_dword s19, s[20:21], 0x0
	s_add_i32 s11, s4, -1
	s_cmp_gt_u32 s11, 1
	s_cselect_b64 s[26:27], -1, 0
	s_cmp_lg_u32 s4, 0
	s_cselect_b64 s[30:31], -1, 0
	s_min_u32 s33, s11, 15
	s_cmp_gt_u32 s4, 1
	s_cselect_b64 s[36:37], -1, 0
	s_mov_b32 s4, s9
	s_lshl_b32 s40, s18, 1
	s_add_i32 s9, s33, 1
	s_ashr_i32 s39, s17, 31
	s_mov_b32 s38, s17
	s_ashr_i32 s41, s40, 31
	s_ashr_i32 s17, s16, 31
	s_and_b32 s9, s9, 30
	s_bitcmp0_b32 s33, 0
                                        ; kill: killed $sgpr20 killed $sgpr21
	s_load_dwordx4 s[20:23], s[0:1], 0xe4
	s_load_dwordx2 s[34:35], s[0:1], 0xf4
	s_waitcnt lgkmcnt(0)
	s_mul_i32 s28, s19, s28
	s_cselect_b64 s[42:43], -1, 0
	s_ashr_i32 s19, s18, 31
	s_lshl_b64 s[44:45], s[38:39], 1
	s_lshl_b64 s[46:47], s[18:19], 1
	s_sub_u32 s46, 0, s46
	s_subb_u32 s47, 0, s47
	s_lshl_b64 s[48:49], s[16:17], 1
	s_add_u32 s0, s0, 12
	s_mov_b32 s29, 0
	s_mov_b32 s11, s21
	;; [unrolled: 1-line block ×3, first 2 shown]
	s_mov_b64 s[18:19], 0
	s_addc_u32 s1, s1, 0
	s_branch .LBB9_3
.LBB9_2:                                ;   in Loop: Header=BB9_3 Depth=1
	v_mov_b32_e32 v7, v1
	v_lshl_add_u64 v[6:7], v[6:7], 1, s[14:15]
	v_mov_b32_e32 v5, v1
	v_lshl_add_u64 v[4:5], v[4:5], 1, s[2:3]
	v_lshl_add_u64 v[8:9], s[38:39], 1, v[6:7]
	global_load_ushort v12, v[8:9], off
	v_lshl_add_u64 v[10:11], s[40:41], 1, v[4:5]
	v_lshl_add_u64 v[8:9], v[8:9], 0, s[44:45]
	global_load_ushort v13, v[10:11], off
	global_load_ushort v14, v[8:9], off
	v_lshl_add_u64 v[8:9], v[10:11], 0, s[46:47]
	global_load_ushort v10, v[6:7], off
	global_load_ushort v11, v[4:5], off
	;; [unrolled: 1-line block ×3, first 2 shown]
	v_lshl_add_u64 v[2:3], v[2:3], 0, s[28:29]
	v_lshl_add_u64 v[4:5], v[0:1], 1, s[12:13]
	v_cmp_le_i64_e32 vcc, s[24:25], v[2:3]
	v_lshl_add_u64 v[6:7], s[16:17], 1, v[4:5]
	s_or_b64 s[18:19], vcc, s[18:19]
	v_lshl_add_u64 v[8:9], v[6:7], 0, s[48:49]
	s_waitcnt vmcnt(4)
	v_mul_lo_u16_e32 v0, v13, v12
	s_waitcnt vmcnt(2)
	v_mul_lo_u16_e32 v13, v10, v13
	;; [unrolled: 2-line block ×4, first 2 shown]
	v_mul_lo_u16_e32 v11, v11, v14
	v_mul_lo_u16_e32 v10, v10, v15
	v_sub_u16_e32 v0, v0, v16
	v_sub_u16_e32 v11, v11, v13
	v_sub_u16_e32 v10, v10, v12
	global_store_short v[4:5], v0, off
	global_store_short v[6:7], v11, off
	;; [unrolled: 1-line block ×3, first 2 shown]
	s_andn2_b64 exec, exec, s[18:19]
	s_cbranch_execz .LBB9_13
.LBB9_3:                                ; =>This Loop Header: Depth=1
                                        ;     Child Loop BB9_6 Depth 2
	s_andn2_b64 vcc, exec, s[26:27]
	s_cbranch_vccnz .LBB9_10
; %bb.4:                                ;   in Loop: Header=BB9_3 Depth=1
	s_andn2_b64 vcc, exec, s[30:31]
	v_mov_b32_e32 v4, 0
	v_mov_b32_e32 v6, 0
	;; [unrolled: 1-line block ×3, first 2 shown]
	s_cbranch_vccnz .LBB9_9
; %bb.5:                                ;   in Loop: Header=BB9_3 Depth=1
	v_mov_b32_e32 v0, 0
	s_mov_b32 s22, s9
	s_mov_b64 s[50:51], s[0:1]
	v_mov_b32_e32 v5, v2
	v_mov_b32_e32 v6, v0
	;; [unrolled: 1-line block ×3, first 2 shown]
.LBB9_6:                                ;   Parent Loop BB9_3 Depth=1
                                        ; =>  This Inner Loop Header: Depth=2
	s_mov_b64 s[60:61], s[50:51]
	s_load_dwordx4 s[52:55], s[60:61], 0x18
	s_load_dwordx2 s[62:63], s[60:61], 0x28
	s_load_dwordx2 s[64:65], s[60:61], 0xe8
	s_load_dwordx4 s[56:59], s[60:61], 0xd8
	s_add_u32 s50, s60, 24
	s_waitcnt lgkmcnt(0)
	v_mul_hi_u32 v7, s53, v5
	v_add_u32_e32 v7, v5, v7
	v_lshrrev_b32_e32 v7, s54, v7
	v_mul_lo_u32 v8, v7, s52
	v_mul_hi_u32 v9, s62, v7
	v_sub_u32_e32 v5, v5, v8
	v_add_u32_e32 v8, v7, v9
	v_mul_lo_u32 v9, v5, s56
	v_mul_lo_u32 v10, v5, s57
	;; [unrolled: 1-line block ×3, first 2 shown]
	v_lshrrev_b32_e32 v5, s63, v8
	v_mul_lo_u32 v8, v5, s55
	v_sub_u32_e32 v7, v7, v8
	s_addc_u32 s51, s61, 0
	s_add_i32 s22, s22, -2
	v_mul_lo_u32 v8, v7, s59
	v_mul_lo_u32 v12, v7, s64
	;; [unrolled: 1-line block ×3, first 2 shown]
	s_cmp_lg_u32 s22, 0
	v_add3_u32 v0, v9, v0, v8
	v_add3_u32 v4, v11, v4, v7
	v_add3_u32 v6, v10, v6, v12
	s_cbranch_scc1 .LBB9_6
; %bb.7:                                ;   in Loop: Header=BB9_3 Depth=1
	s_andn2_b64 vcc, exec, s[42:43]
	s_cbranch_vccnz .LBB9_9
; %bb.8:                                ;   in Loop: Header=BB9_3 Depth=1
	s_load_dwordx2 s[52:53], s[50:51], 0x18
	s_load_dword s22, s[50:51], 0x20
	s_load_dword s33, s[50:51], 0xe0
	s_nop 0
	s_load_dwordx2 s[50:51], s[50:51], 0xd8
	s_waitcnt lgkmcnt(0)
	v_mul_hi_u32 v7, s53, v5
	v_add_u32_e32 v7, v5, v7
	v_lshrrev_b32_e32 v7, s22, v7
	v_mul_lo_u32 v7, v7, s52
	v_sub_u32_e32 v5, v5, v7
	v_mad_u64_u32 v[8:9], s[52:53], v5, s50, v[0:1]
	v_mad_u64_u32 v[6:7], s[50:51], v5, s51, v[6:7]
	;; [unrolled: 1-line block ×3, first 2 shown]
	v_mov_b32_e32 v0, v8
.LBB9_9:                                ;   in Loop: Header=BB9_3 Depth=1
	s_cbranch_execnz .LBB9_2
	s_branch .LBB9_11
.LBB9_10:                               ;   in Loop: Header=BB9_3 Depth=1
                                        ; implicit-def: $vgpr4
                                        ; implicit-def: $vgpr6
.LBB9_11:                               ;   in Loop: Header=BB9_3 Depth=1
	v_mul_hi_u32 v0, v2, s6
	v_add_u32_e32 v0, v0, v2
	v_lshrrev_b32_e32 v5, s7, v0
	v_mul_lo_u32 v0, v5, s5
	v_sub_u32_e32 v6, v2, v0
	v_mul_lo_u32 v0, v6, s20
	v_mul_lo_u32 v4, v6, s21
	s_andn2_b64 vcc, exec, s[36:37]
	v_mul_lo_u32 v6, v6, s11
	s_cbranch_vccnz .LBB9_2
; %bb.12:                               ;   in Loop: Header=BB9_3 Depth=1
	v_mul_hi_u32 v7, s4, v5
	v_add_u32_e32 v7, v5, v7
	v_lshrrev_b32_e32 v7, s10, v7
	v_mul_lo_u32 v7, v7, s8
	v_sub_u32_e32 v5, v5, v7
	v_mad_u64_u32 v[8:9], s[50:51], v5, s23, v[0:1]
	v_mad_u64_u32 v[6:7], s[50:51], v5, s34, v[6:7]
	;; [unrolled: 1-line block ×3, first 2 shown]
	v_mov_b32_e32 v0, v8
	s_branch .LBB9_2
.LBB9_13:
	s_endpgm
	.section	.rodata,"a",@progbits
	.p2align	6, 0x0
	.amdhsa_kernel _ZN2at6native12cross_kernelIs16OffsetCalculatorILi3EjLb0EEiEEviPT_PKS4_S7_T0_T1_S9_S9_
		.amdhsa_group_segment_fixed_size 0
		.amdhsa_private_segment_fixed_size 0
		.amdhsa_kernarg_size 688
		.amdhsa_user_sgpr_count 2
		.amdhsa_user_sgpr_dispatch_ptr 0
		.amdhsa_user_sgpr_queue_ptr 0
		.amdhsa_user_sgpr_kernarg_segment_ptr 1
		.amdhsa_user_sgpr_dispatch_id 0
		.amdhsa_user_sgpr_kernarg_preload_length 0
		.amdhsa_user_sgpr_kernarg_preload_offset 0
		.amdhsa_user_sgpr_private_segment_size 0
		.amdhsa_uses_dynamic_stack 0
		.amdhsa_enable_private_segment 0
		.amdhsa_system_sgpr_workgroup_id_x 1
		.amdhsa_system_sgpr_workgroup_id_y 0
		.amdhsa_system_sgpr_workgroup_id_z 0
		.amdhsa_system_sgpr_workgroup_info 0
		.amdhsa_system_vgpr_workitem_id 0
		.amdhsa_next_free_vgpr 17
		.amdhsa_next_free_sgpr 66
		.amdhsa_accum_offset 20
		.amdhsa_reserve_vcc 1
		.amdhsa_float_round_mode_32 0
		.amdhsa_float_round_mode_16_64 0
		.amdhsa_float_denorm_mode_32 3
		.amdhsa_float_denorm_mode_16_64 3
		.amdhsa_dx10_clamp 1
		.amdhsa_ieee_mode 1
		.amdhsa_fp16_overflow 0
		.amdhsa_tg_split 0
		.amdhsa_exception_fp_ieee_invalid_op 0
		.amdhsa_exception_fp_denorm_src 0
		.amdhsa_exception_fp_ieee_div_zero 0
		.amdhsa_exception_fp_ieee_overflow 0
		.amdhsa_exception_fp_ieee_underflow 0
		.amdhsa_exception_fp_ieee_inexact 0
		.amdhsa_exception_int_div_zero 0
	.end_amdhsa_kernel
	.section	.text._ZN2at6native12cross_kernelIs16OffsetCalculatorILi3EjLb0EEiEEviPT_PKS4_S7_T0_T1_S9_S9_,"axG",@progbits,_ZN2at6native12cross_kernelIs16OffsetCalculatorILi3EjLb0EEiEEviPT_PKS4_S7_T0_T1_S9_S9_,comdat
.Lfunc_end9:
	.size	_ZN2at6native12cross_kernelIs16OffsetCalculatorILi3EjLb0EEiEEviPT_PKS4_S7_T0_T1_S9_S9_, .Lfunc_end9-_ZN2at6native12cross_kernelIs16OffsetCalculatorILi3EjLb0EEiEEviPT_PKS4_S7_T0_T1_S9_S9_
                                        ; -- End function
	.section	.AMDGPU.csdata,"",@progbits
; Kernel info:
; codeLenInByte = 968
; NumSgprs: 72
; NumVgprs: 17
; NumAgprs: 0
; TotalNumVgprs: 17
; ScratchSize: 0
; MemoryBound: 0
; FloatMode: 240
; IeeeMode: 1
; LDSByteSize: 0 bytes/workgroup (compile time only)
; SGPRBlocks: 8
; VGPRBlocks: 2
; NumSGPRsForWavesPerEU: 72
; NumVGPRsForWavesPerEU: 17
; AccumOffset: 20
; Occupancy: 8
; WaveLimiterHint : 1
; COMPUTE_PGM_RSRC2:SCRATCH_EN: 0
; COMPUTE_PGM_RSRC2:USER_SGPR: 2
; COMPUTE_PGM_RSRC2:TRAP_HANDLER: 0
; COMPUTE_PGM_RSRC2:TGID_X_EN: 1
; COMPUTE_PGM_RSRC2:TGID_Y_EN: 0
; COMPUTE_PGM_RSRC2:TGID_Z_EN: 0
; COMPUTE_PGM_RSRC2:TIDIG_COMP_CNT: 0
; COMPUTE_PGM_RSRC3_GFX90A:ACCUM_OFFSET: 4
; COMPUTE_PGM_RSRC3_GFX90A:TG_SPLIT: 0
	.section	.text._ZN2at6native12cross_kernelId16OffsetCalculatorILi3EjLb0EElEEviPT_PKS4_S7_T0_T1_S9_S9_,"axG",@progbits,_ZN2at6native12cross_kernelId16OffsetCalculatorILi3EjLb0EElEEviPT_PKS4_S7_T0_T1_S9_S9_,comdat
	.protected	_ZN2at6native12cross_kernelId16OffsetCalculatorILi3EjLb0EElEEviPT_PKS4_S7_T0_T1_S9_S9_ ; -- Begin function _ZN2at6native12cross_kernelId16OffsetCalculatorILi3EjLb0EElEEviPT_PKS4_S7_T0_T1_S9_S9_
	.globl	_ZN2at6native12cross_kernelId16OffsetCalculatorILi3EjLb0EElEEviPT_PKS4_S7_T0_T1_S9_S9_
	.p2align	8
	.type	_ZN2at6native12cross_kernelId16OffsetCalculatorILi3EjLb0EElEEviPT_PKS4_S7_T0_T1_S9_S9_,@function
_ZN2at6native12cross_kernelId16OffsetCalculatorILi3EjLb0EElEEviPT_PKS4_S7_T0_T1_S9_S9_: ; @_ZN2at6native12cross_kernelId16OffsetCalculatorILi3EjLb0EElEEviPT_PKS4_S7_T0_T1_S9_S9_
; %bb.0:
	s_load_dword s24, s[0:1], 0x0
	s_load_dword s3, s[0:1], 0x1cc
	v_mov_b32_e32 v1, 0
	v_mov_b32_e32 v2, s2
	s_waitcnt lgkmcnt(0)
	s_ashr_i32 s25, s24, 31
	s_add_u32 s20, s0, 0x1c0
	s_addc_u32 s21, s1, 0
	s_and_b32 s28, s3, 0xffff
	v_mad_u64_u32 v[2:3], s[2:3], s28, v2, v[0:1]
	v_cmp_gt_i64_e32 vcc, s[24:25], v[2:3]
	s_and_saveexec_b64 s[2:3], vcc
	s_cbranch_execz .LBB10_13
; %bb.1:
	s_load_dwordx8 s[4:11], s[0:1], 0x20
	s_load_dwordx4 s[12:15], s[0:1], 0x8
	s_load_dwordx2 s[2:3], s[0:1], 0x18
	s_load_dwordx2 s[44:45], s[0:1], 0x1b8
	s_load_dwordx4 s[16:19], s[0:1], 0x1a8
	s_load_dword s33, s[20:21], 0x0
	s_waitcnt lgkmcnt(0)
	s_add_i32 s11, s4, -1
	s_cmp_gt_u32 s11, 1
	s_cselect_b64 s[26:27], -1, 0
	s_cmp_lg_u32 s4, 0
	s_cselect_b64 s[30:31], -1, 0
	s_min_u32 s40, s11, 15
	s_cmp_gt_u32 s4, 1
	s_cselect_b64 s[36:37], -1, 0
	s_mov_b32 s4, s9
	s_add_i32 s9, s40, 1
	s_lshl_b64 s[38:39], s[44:45], 4
	s_and_b32 s9, s9, 30
	s_load_dwordx4 s[20:23], s[0:1], 0xe4
	s_load_dwordx2 s[34:35], s[0:1], 0xf4
	s_bitcmp0_b32 s40, 0
	s_cselect_b64 s[40:41], -1, 0
	s_lshl_b64 s[42:43], s[18:19], 3
	s_lshl_b64 s[46:47], s[44:45], 3
	s_sub_u32 s46, 0, s46
	s_subb_u32 s47, 0, s47
	s_lshl_b64 s[48:49], s[16:17], 3
	s_add_u32 s0, s0, 12
	s_mov_b32 s29, 0
	s_waitcnt lgkmcnt(0)
	s_mov_b32 s11, s21
	s_mov_b32 s21, s22
	s_mul_i32 s28, s33, s28
	s_mov_b64 s[44:45], 0
	s_addc_u32 s1, s1, 0
	s_branch .LBB10_3
.LBB10_2:                               ;   in Loop: Header=BB10_3 Depth=1
	v_mov_b32_e32 v7, v1
	v_lshl_add_u64 v[6:7], v[6:7], 3, s[14:15]
	v_mov_b32_e32 v5, v1
	v_lshl_add_u64 v[4:5], v[4:5], 3, s[2:3]
	v_lshl_add_u64 v[8:9], s[18:19], 3, v[6:7]
	global_load_dwordx2 v[10:11], v[8:9], off
	v_lshl_add_u64 v[12:13], v[4:5], 0, s[38:39]
	v_lshl_add_u64 v[8:9], v[8:9], 0, s[42:43]
	global_load_dwordx2 v[14:15], v[12:13], off
	v_lshl_add_u64 v[12:13], v[12:13], 0, s[46:47]
	global_load_dwordx2 v[8:9], v[8:9], off
	s_nop 0
	global_load_dwordx2 v[16:17], v[6:7], off
	global_load_dwordx2 v[18:19], v[4:5], off
	;; [unrolled: 1-line block ×3, first 2 shown]
	v_lshl_add_u64 v[2:3], v[2:3], 0, s[28:29]
	v_lshl_add_u64 v[4:5], v[0:1], 3, s[12:13]
	v_cmp_le_i64_e32 vcc, s[24:25], v[2:3]
	v_lshl_add_u64 v[6:7], s[16:17], 3, v[4:5]
	s_or_b64 s[44:45], vcc, s[44:45]
	v_lshl_add_u64 v[12:13], v[6:7], 0, s[48:49]
	s_waitcnt vmcnt(2)
	v_mul_f64 v[22:23], v[14:15], v[16:17]
	s_waitcnt vmcnt(1)
	v_mul_f64 v[24:25], v[10:11], v[18:19]
	;; [unrolled: 2-line block ×3, first 2 shown]
	v_fma_f64 v[10:11], v[10:11], v[14:15], -v[26:27]
	v_fma_f64 v[8:9], v[8:9], v[18:19], -v[22:23]
	;; [unrolled: 1-line block ×3, first 2 shown]
	global_store_dwordx2 v[4:5], v[10:11], off
	global_store_dwordx2 v[6:7], v[8:9], off
	;; [unrolled: 1-line block ×3, first 2 shown]
	s_andn2_b64 exec, exec, s[44:45]
	s_cbranch_execz .LBB10_13
.LBB10_3:                               ; =>This Loop Header: Depth=1
                                        ;     Child Loop BB10_6 Depth 2
	s_andn2_b64 vcc, exec, s[26:27]
	s_cbranch_vccnz .LBB10_10
; %bb.4:                                ;   in Loop: Header=BB10_3 Depth=1
	s_andn2_b64 vcc, exec, s[30:31]
	v_mov_b32_e32 v4, 0
	v_mov_b32_e32 v6, 0
	;; [unrolled: 1-line block ×3, first 2 shown]
	s_cbranch_vccnz .LBB10_9
; %bb.5:                                ;   in Loop: Header=BB10_3 Depth=1
	v_mov_b32_e32 v0, 0
	s_mov_b32 s22, s9
	s_mov_b64 s[50:51], s[0:1]
	v_mov_b32_e32 v5, v2
	v_mov_b32_e32 v6, v0
	;; [unrolled: 1-line block ×3, first 2 shown]
.LBB10_6:                               ;   Parent Loop BB10_3 Depth=1
                                        ; =>  This Inner Loop Header: Depth=2
	s_mov_b64 s[60:61], s[50:51]
	s_load_dwordx4 s[52:55], s[60:61], 0x18
	s_load_dwordx2 s[62:63], s[60:61], 0x28
	s_load_dwordx2 s[64:65], s[60:61], 0xe8
	s_load_dwordx4 s[56:59], s[60:61], 0xd8
	s_add_u32 s50, s60, 24
	s_waitcnt lgkmcnt(0)
	v_mul_hi_u32 v7, s53, v5
	v_add_u32_e32 v7, v5, v7
	v_lshrrev_b32_e32 v7, s54, v7
	v_mul_lo_u32 v8, v7, s52
	v_mul_hi_u32 v9, s62, v7
	v_sub_u32_e32 v5, v5, v8
	v_add_u32_e32 v8, v7, v9
	v_mul_lo_u32 v9, v5, s56
	v_mul_lo_u32 v10, v5, s57
	;; [unrolled: 1-line block ×3, first 2 shown]
	v_lshrrev_b32_e32 v5, s63, v8
	v_mul_lo_u32 v8, v5, s55
	v_sub_u32_e32 v7, v7, v8
	s_addc_u32 s51, s61, 0
	s_add_i32 s22, s22, -2
	v_mul_lo_u32 v8, v7, s59
	v_mul_lo_u32 v12, v7, s64
	;; [unrolled: 1-line block ×3, first 2 shown]
	s_cmp_lg_u32 s22, 0
	v_add3_u32 v0, v9, v0, v8
	v_add3_u32 v4, v11, v4, v7
	v_add3_u32 v6, v10, v6, v12
	s_cbranch_scc1 .LBB10_6
; %bb.7:                                ;   in Loop: Header=BB10_3 Depth=1
	s_andn2_b64 vcc, exec, s[40:41]
	s_cbranch_vccnz .LBB10_9
; %bb.8:                                ;   in Loop: Header=BB10_3 Depth=1
	s_load_dwordx2 s[52:53], s[50:51], 0x18
	s_load_dword s22, s[50:51], 0x20
	s_load_dword s33, s[50:51], 0xe0
	s_nop 0
	s_load_dwordx2 s[50:51], s[50:51], 0xd8
	s_waitcnt lgkmcnt(0)
	v_mul_hi_u32 v7, s53, v5
	v_add_u32_e32 v7, v5, v7
	v_lshrrev_b32_e32 v7, s22, v7
	v_mul_lo_u32 v7, v7, s52
	v_sub_u32_e32 v5, v5, v7
	v_mad_u64_u32 v[8:9], s[52:53], v5, s50, v[0:1]
	v_mad_u64_u32 v[6:7], s[50:51], v5, s51, v[6:7]
	;; [unrolled: 1-line block ×3, first 2 shown]
	v_mov_b32_e32 v0, v8
.LBB10_9:                               ;   in Loop: Header=BB10_3 Depth=1
	s_cbranch_execnz .LBB10_2
	s_branch .LBB10_11
.LBB10_10:                              ;   in Loop: Header=BB10_3 Depth=1
                                        ; implicit-def: $vgpr4
                                        ; implicit-def: $vgpr6
.LBB10_11:                              ;   in Loop: Header=BB10_3 Depth=1
	v_mul_hi_u32 v0, v2, s6
	v_add_u32_e32 v0, v0, v2
	v_lshrrev_b32_e32 v5, s7, v0
	v_mul_lo_u32 v0, v5, s5
	v_sub_u32_e32 v6, v2, v0
	v_mul_lo_u32 v0, v6, s20
	v_mul_lo_u32 v4, v6, s21
	s_andn2_b64 vcc, exec, s[36:37]
	v_mul_lo_u32 v6, v6, s11
	s_cbranch_vccnz .LBB10_2
; %bb.12:                               ;   in Loop: Header=BB10_3 Depth=1
	v_mul_hi_u32 v7, s4, v5
	v_add_u32_e32 v7, v5, v7
	v_lshrrev_b32_e32 v7, s10, v7
	v_mul_lo_u32 v7, v7, s8
	v_sub_u32_e32 v5, v5, v7
	v_mad_u64_u32 v[8:9], s[50:51], v5, s23, v[0:1]
	v_mad_u64_u32 v[6:7], s[50:51], v5, s34, v[6:7]
	;; [unrolled: 1-line block ×3, first 2 shown]
	v_mov_b32_e32 v0, v8
	s_branch .LBB10_2
.LBB10_13:
	s_endpgm
	.section	.rodata,"a",@progbits
	.p2align	6, 0x0
	.amdhsa_kernel _ZN2at6native12cross_kernelId16OffsetCalculatorILi3EjLb0EElEEviPT_PKS4_S7_T0_T1_S9_S9_
		.amdhsa_group_segment_fixed_size 0
		.amdhsa_private_segment_fixed_size 0
		.amdhsa_kernarg_size 704
		.amdhsa_user_sgpr_count 2
		.amdhsa_user_sgpr_dispatch_ptr 0
		.amdhsa_user_sgpr_queue_ptr 0
		.amdhsa_user_sgpr_kernarg_segment_ptr 1
		.amdhsa_user_sgpr_dispatch_id 0
		.amdhsa_user_sgpr_kernarg_preload_length 0
		.amdhsa_user_sgpr_kernarg_preload_offset 0
		.amdhsa_user_sgpr_private_segment_size 0
		.amdhsa_uses_dynamic_stack 0
		.amdhsa_enable_private_segment 0
		.amdhsa_system_sgpr_workgroup_id_x 1
		.amdhsa_system_sgpr_workgroup_id_y 0
		.amdhsa_system_sgpr_workgroup_id_z 0
		.amdhsa_system_sgpr_workgroup_info 0
		.amdhsa_system_vgpr_workitem_id 0
		.amdhsa_next_free_vgpr 28
		.amdhsa_next_free_sgpr 66
		.amdhsa_accum_offset 28
		.amdhsa_reserve_vcc 1
		.amdhsa_float_round_mode_32 0
		.amdhsa_float_round_mode_16_64 0
		.amdhsa_float_denorm_mode_32 3
		.amdhsa_float_denorm_mode_16_64 3
		.amdhsa_dx10_clamp 1
		.amdhsa_ieee_mode 1
		.amdhsa_fp16_overflow 0
		.amdhsa_tg_split 0
		.amdhsa_exception_fp_ieee_invalid_op 0
		.amdhsa_exception_fp_denorm_src 0
		.amdhsa_exception_fp_ieee_div_zero 0
		.amdhsa_exception_fp_ieee_overflow 0
		.amdhsa_exception_fp_ieee_underflow 0
		.amdhsa_exception_fp_ieee_inexact 0
		.amdhsa_exception_int_div_zero 0
	.end_amdhsa_kernel
	.section	.text._ZN2at6native12cross_kernelId16OffsetCalculatorILi3EjLb0EElEEviPT_PKS4_S7_T0_T1_S9_S9_,"axG",@progbits,_ZN2at6native12cross_kernelId16OffsetCalculatorILi3EjLb0EElEEviPT_PKS4_S7_T0_T1_S9_S9_,comdat
.Lfunc_end10:
	.size	_ZN2at6native12cross_kernelId16OffsetCalculatorILi3EjLb0EElEEviPT_PKS4_S7_T0_T1_S9_S9_, .Lfunc_end10-_ZN2at6native12cross_kernelId16OffsetCalculatorILi3EjLb0EElEEviPT_PKS4_S7_T0_T1_S9_S9_
                                        ; -- End function
	.section	.AMDGPU.csdata,"",@progbits
; Kernel info:
; codeLenInByte = 968
; NumSgprs: 72
; NumVgprs: 28
; NumAgprs: 0
; TotalNumVgprs: 28
; ScratchSize: 0
; MemoryBound: 0
; FloatMode: 240
; IeeeMode: 1
; LDSByteSize: 0 bytes/workgroup (compile time only)
; SGPRBlocks: 8
; VGPRBlocks: 3
; NumSGPRsForWavesPerEU: 72
; NumVGPRsForWavesPerEU: 28
; AccumOffset: 28
; Occupancy: 8
; WaveLimiterHint : 1
; COMPUTE_PGM_RSRC2:SCRATCH_EN: 0
; COMPUTE_PGM_RSRC2:USER_SGPR: 2
; COMPUTE_PGM_RSRC2:TRAP_HANDLER: 0
; COMPUTE_PGM_RSRC2:TGID_X_EN: 1
; COMPUTE_PGM_RSRC2:TGID_Y_EN: 0
; COMPUTE_PGM_RSRC2:TGID_Z_EN: 0
; COMPUTE_PGM_RSRC2:TIDIG_COMP_CNT: 0
; COMPUTE_PGM_RSRC3_GFX90A:ACCUM_OFFSET: 6
; COMPUTE_PGM_RSRC3_GFX90A:TG_SPLIT: 0
	.section	.text._ZN2at6native12cross_kernelId16OffsetCalculatorILi3EjLb0EEiEEviPT_PKS4_S7_T0_T1_S9_S9_,"axG",@progbits,_ZN2at6native12cross_kernelId16OffsetCalculatorILi3EjLb0EEiEEviPT_PKS4_S7_T0_T1_S9_S9_,comdat
	.protected	_ZN2at6native12cross_kernelId16OffsetCalculatorILi3EjLb0EEiEEviPT_PKS4_S7_T0_T1_S9_S9_ ; -- Begin function _ZN2at6native12cross_kernelId16OffsetCalculatorILi3EjLb0EEiEEviPT_PKS4_S7_T0_T1_S9_S9_
	.globl	_ZN2at6native12cross_kernelId16OffsetCalculatorILi3EjLb0EEiEEviPT_PKS4_S7_T0_T1_S9_S9_
	.p2align	8
	.type	_ZN2at6native12cross_kernelId16OffsetCalculatorILi3EjLb0EEiEEviPT_PKS4_S7_T0_T1_S9_S9_,@function
_ZN2at6native12cross_kernelId16OffsetCalculatorILi3EjLb0EEiEEviPT_PKS4_S7_T0_T1_S9_S9_: ; @_ZN2at6native12cross_kernelId16OffsetCalculatorILi3EjLb0EEiEEviPT_PKS4_S7_T0_T1_S9_S9_
; %bb.0:
	s_load_dword s24, s[0:1], 0x0
	s_load_dword s3, s[0:1], 0x1bc
	v_mov_b32_e32 v1, 0
	v_mov_b32_e32 v2, s2
	s_waitcnt lgkmcnt(0)
	s_ashr_i32 s25, s24, 31
	s_add_u32 s20, s0, 0x1b0
	s_addc_u32 s21, s1, 0
	s_and_b32 s28, s3, 0xffff
	v_mad_u64_u32 v[2:3], s[2:3], s28, v2, v[0:1]
	v_cmp_gt_i64_e32 vcc, s[24:25], v[2:3]
	s_and_saveexec_b64 s[2:3], vcc
	s_cbranch_execz .LBB11_13
; %bb.1:
	s_load_dwordx8 s[4:11], s[0:1], 0x20
	s_load_dwordx4 s[12:15], s[0:1], 0x8
	s_load_dwordx2 s[2:3], s[0:1], 0x18
	s_load_dwordx4 s[16:19], s[0:1], 0x1a4
	s_waitcnt lgkmcnt(0)
	s_load_dword s19, s[20:21], 0x0
	s_add_i32 s11, s4, -1
	s_cmp_gt_u32 s11, 1
	s_cselect_b64 s[26:27], -1, 0
	s_cmp_lg_u32 s4, 0
	s_cselect_b64 s[30:31], -1, 0
	s_min_u32 s33, s11, 15
	s_cmp_gt_u32 s4, 1
	s_cselect_b64 s[36:37], -1, 0
	s_mov_b32 s4, s9
	s_lshl_b32 s40, s18, 1
	s_add_i32 s9, s33, 1
	s_ashr_i32 s39, s17, 31
	s_mov_b32 s38, s17
	s_ashr_i32 s41, s40, 31
	s_ashr_i32 s17, s16, 31
	s_and_b32 s9, s9, 30
	s_bitcmp0_b32 s33, 0
                                        ; kill: killed $sgpr20 killed $sgpr21
	s_load_dwordx4 s[20:23], s[0:1], 0xe4
	s_load_dwordx2 s[34:35], s[0:1], 0xf4
	s_waitcnt lgkmcnt(0)
	s_mul_i32 s28, s19, s28
	s_cselect_b64 s[42:43], -1, 0
	s_ashr_i32 s19, s18, 31
	s_lshl_b64 s[44:45], s[38:39], 3
	s_lshl_b64 s[46:47], s[18:19], 3
	s_sub_u32 s46, 0, s46
	s_subb_u32 s47, 0, s47
	s_lshl_b64 s[48:49], s[16:17], 3
	s_add_u32 s0, s0, 12
	s_mov_b32 s29, 0
	s_mov_b32 s11, s21
	;; [unrolled: 1-line block ×3, first 2 shown]
	s_mov_b64 s[18:19], 0
	s_addc_u32 s1, s1, 0
	s_branch .LBB11_3
.LBB11_2:                               ;   in Loop: Header=BB11_3 Depth=1
	v_mov_b32_e32 v7, v1
	v_lshl_add_u64 v[6:7], v[6:7], 3, s[14:15]
	v_mov_b32_e32 v5, v1
	v_lshl_add_u64 v[4:5], v[4:5], 3, s[2:3]
	v_lshl_add_u64 v[8:9], s[38:39], 3, v[6:7]
	global_load_dwordx2 v[10:11], v[8:9], off
	v_lshl_add_u64 v[12:13], s[40:41], 3, v[4:5]
	v_lshl_add_u64 v[8:9], v[8:9], 0, s[44:45]
	global_load_dwordx2 v[14:15], v[12:13], off
	v_lshl_add_u64 v[12:13], v[12:13], 0, s[46:47]
	global_load_dwordx2 v[8:9], v[8:9], off
	s_nop 0
	global_load_dwordx2 v[16:17], v[6:7], off
	global_load_dwordx2 v[18:19], v[4:5], off
	;; [unrolled: 1-line block ×3, first 2 shown]
	v_lshl_add_u64 v[2:3], v[2:3], 0, s[28:29]
	v_lshl_add_u64 v[4:5], v[0:1], 3, s[12:13]
	v_cmp_le_i64_e32 vcc, s[24:25], v[2:3]
	v_lshl_add_u64 v[6:7], s[16:17], 3, v[4:5]
	s_or_b64 s[18:19], vcc, s[18:19]
	v_lshl_add_u64 v[12:13], v[6:7], 0, s[48:49]
	s_waitcnt vmcnt(2)
	v_mul_f64 v[22:23], v[14:15], v[16:17]
	s_waitcnt vmcnt(1)
	v_mul_f64 v[24:25], v[10:11], v[18:19]
	;; [unrolled: 2-line block ×3, first 2 shown]
	v_fma_f64 v[10:11], v[10:11], v[14:15], -v[26:27]
	v_fma_f64 v[8:9], v[8:9], v[18:19], -v[22:23]
	;; [unrolled: 1-line block ×3, first 2 shown]
	global_store_dwordx2 v[4:5], v[10:11], off
	global_store_dwordx2 v[6:7], v[8:9], off
	global_store_dwordx2 v[12:13], v[16:17], off
	s_andn2_b64 exec, exec, s[18:19]
	s_cbranch_execz .LBB11_13
.LBB11_3:                               ; =>This Loop Header: Depth=1
                                        ;     Child Loop BB11_6 Depth 2
	s_andn2_b64 vcc, exec, s[26:27]
	s_cbranch_vccnz .LBB11_10
; %bb.4:                                ;   in Loop: Header=BB11_3 Depth=1
	s_andn2_b64 vcc, exec, s[30:31]
	v_mov_b32_e32 v4, 0
	v_mov_b32_e32 v6, 0
	;; [unrolled: 1-line block ×3, first 2 shown]
	s_cbranch_vccnz .LBB11_9
; %bb.5:                                ;   in Loop: Header=BB11_3 Depth=1
	v_mov_b32_e32 v0, 0
	s_mov_b32 s22, s9
	s_mov_b64 s[50:51], s[0:1]
	v_mov_b32_e32 v5, v2
	v_mov_b32_e32 v6, v0
	;; [unrolled: 1-line block ×3, first 2 shown]
.LBB11_6:                               ;   Parent Loop BB11_3 Depth=1
                                        ; =>  This Inner Loop Header: Depth=2
	s_mov_b64 s[60:61], s[50:51]
	s_load_dwordx4 s[52:55], s[60:61], 0x18
	s_load_dwordx2 s[62:63], s[60:61], 0x28
	s_load_dwordx2 s[64:65], s[60:61], 0xe8
	s_load_dwordx4 s[56:59], s[60:61], 0xd8
	s_add_u32 s50, s60, 24
	s_waitcnt lgkmcnt(0)
	v_mul_hi_u32 v7, s53, v5
	v_add_u32_e32 v7, v5, v7
	v_lshrrev_b32_e32 v7, s54, v7
	v_mul_lo_u32 v8, v7, s52
	v_mul_hi_u32 v9, s62, v7
	v_sub_u32_e32 v5, v5, v8
	v_add_u32_e32 v8, v7, v9
	v_mul_lo_u32 v9, v5, s56
	v_mul_lo_u32 v10, v5, s57
	v_mul_lo_u32 v11, v5, s58
	v_lshrrev_b32_e32 v5, s63, v8
	v_mul_lo_u32 v8, v5, s55
	v_sub_u32_e32 v7, v7, v8
	s_addc_u32 s51, s61, 0
	s_add_i32 s22, s22, -2
	v_mul_lo_u32 v8, v7, s59
	v_mul_lo_u32 v12, v7, s64
	;; [unrolled: 1-line block ×3, first 2 shown]
	s_cmp_lg_u32 s22, 0
	v_add3_u32 v0, v9, v0, v8
	v_add3_u32 v4, v11, v4, v7
	;; [unrolled: 1-line block ×3, first 2 shown]
	s_cbranch_scc1 .LBB11_6
; %bb.7:                                ;   in Loop: Header=BB11_3 Depth=1
	s_andn2_b64 vcc, exec, s[42:43]
	s_cbranch_vccnz .LBB11_9
; %bb.8:                                ;   in Loop: Header=BB11_3 Depth=1
	s_load_dwordx2 s[52:53], s[50:51], 0x18
	s_load_dword s22, s[50:51], 0x20
	s_load_dword s33, s[50:51], 0xe0
	s_nop 0
	s_load_dwordx2 s[50:51], s[50:51], 0xd8
	s_waitcnt lgkmcnt(0)
	v_mul_hi_u32 v7, s53, v5
	v_add_u32_e32 v7, v5, v7
	v_lshrrev_b32_e32 v7, s22, v7
	v_mul_lo_u32 v7, v7, s52
	v_sub_u32_e32 v5, v5, v7
	v_mad_u64_u32 v[8:9], s[52:53], v5, s50, v[0:1]
	v_mad_u64_u32 v[6:7], s[50:51], v5, s51, v[6:7]
	;; [unrolled: 1-line block ×3, first 2 shown]
	v_mov_b32_e32 v0, v8
.LBB11_9:                               ;   in Loop: Header=BB11_3 Depth=1
	s_cbranch_execnz .LBB11_2
	s_branch .LBB11_11
.LBB11_10:                              ;   in Loop: Header=BB11_3 Depth=1
                                        ; implicit-def: $vgpr4
                                        ; implicit-def: $vgpr6
.LBB11_11:                              ;   in Loop: Header=BB11_3 Depth=1
	v_mul_hi_u32 v0, v2, s6
	v_add_u32_e32 v0, v0, v2
	v_lshrrev_b32_e32 v5, s7, v0
	v_mul_lo_u32 v0, v5, s5
	v_sub_u32_e32 v6, v2, v0
	v_mul_lo_u32 v0, v6, s20
	v_mul_lo_u32 v4, v6, s21
	s_andn2_b64 vcc, exec, s[36:37]
	v_mul_lo_u32 v6, v6, s11
	s_cbranch_vccnz .LBB11_2
; %bb.12:                               ;   in Loop: Header=BB11_3 Depth=1
	v_mul_hi_u32 v7, s4, v5
	v_add_u32_e32 v7, v5, v7
	v_lshrrev_b32_e32 v7, s10, v7
	v_mul_lo_u32 v7, v7, s8
	v_sub_u32_e32 v5, v5, v7
	v_mad_u64_u32 v[8:9], s[50:51], v5, s23, v[0:1]
	v_mad_u64_u32 v[6:7], s[50:51], v5, s34, v[6:7]
	;; [unrolled: 1-line block ×3, first 2 shown]
	v_mov_b32_e32 v0, v8
	s_branch .LBB11_2
.LBB11_13:
	s_endpgm
	.section	.rodata,"a",@progbits
	.p2align	6, 0x0
	.amdhsa_kernel _ZN2at6native12cross_kernelId16OffsetCalculatorILi3EjLb0EEiEEviPT_PKS4_S7_T0_T1_S9_S9_
		.amdhsa_group_segment_fixed_size 0
		.amdhsa_private_segment_fixed_size 0
		.amdhsa_kernarg_size 688
		.amdhsa_user_sgpr_count 2
		.amdhsa_user_sgpr_dispatch_ptr 0
		.amdhsa_user_sgpr_queue_ptr 0
		.amdhsa_user_sgpr_kernarg_segment_ptr 1
		.amdhsa_user_sgpr_dispatch_id 0
		.amdhsa_user_sgpr_kernarg_preload_length 0
		.amdhsa_user_sgpr_kernarg_preload_offset 0
		.amdhsa_user_sgpr_private_segment_size 0
		.amdhsa_uses_dynamic_stack 0
		.amdhsa_enable_private_segment 0
		.amdhsa_system_sgpr_workgroup_id_x 1
		.amdhsa_system_sgpr_workgroup_id_y 0
		.amdhsa_system_sgpr_workgroup_id_z 0
		.amdhsa_system_sgpr_workgroup_info 0
		.amdhsa_system_vgpr_workitem_id 0
		.amdhsa_next_free_vgpr 28
		.amdhsa_next_free_sgpr 66
		.amdhsa_accum_offset 28
		.amdhsa_reserve_vcc 1
		.amdhsa_float_round_mode_32 0
		.amdhsa_float_round_mode_16_64 0
		.amdhsa_float_denorm_mode_32 3
		.amdhsa_float_denorm_mode_16_64 3
		.amdhsa_dx10_clamp 1
		.amdhsa_ieee_mode 1
		.amdhsa_fp16_overflow 0
		.amdhsa_tg_split 0
		.amdhsa_exception_fp_ieee_invalid_op 0
		.amdhsa_exception_fp_denorm_src 0
		.amdhsa_exception_fp_ieee_div_zero 0
		.amdhsa_exception_fp_ieee_overflow 0
		.amdhsa_exception_fp_ieee_underflow 0
		.amdhsa_exception_fp_ieee_inexact 0
		.amdhsa_exception_int_div_zero 0
	.end_amdhsa_kernel
	.section	.text._ZN2at6native12cross_kernelId16OffsetCalculatorILi3EjLb0EEiEEviPT_PKS4_S7_T0_T1_S9_S9_,"axG",@progbits,_ZN2at6native12cross_kernelId16OffsetCalculatorILi3EjLb0EEiEEviPT_PKS4_S7_T0_T1_S9_S9_,comdat
.Lfunc_end11:
	.size	_ZN2at6native12cross_kernelId16OffsetCalculatorILi3EjLb0EEiEEviPT_PKS4_S7_T0_T1_S9_S9_, .Lfunc_end11-_ZN2at6native12cross_kernelId16OffsetCalculatorILi3EjLb0EEiEEviPT_PKS4_S7_T0_T1_S9_S9_
                                        ; -- End function
	.section	.AMDGPU.csdata,"",@progbits
; Kernel info:
; codeLenInByte = 980
; NumSgprs: 72
; NumVgprs: 28
; NumAgprs: 0
; TotalNumVgprs: 28
; ScratchSize: 0
; MemoryBound: 0
; FloatMode: 240
; IeeeMode: 1
; LDSByteSize: 0 bytes/workgroup (compile time only)
; SGPRBlocks: 8
; VGPRBlocks: 3
; NumSGPRsForWavesPerEU: 72
; NumVGPRsForWavesPerEU: 28
; AccumOffset: 28
; Occupancy: 8
; WaveLimiterHint : 1
; COMPUTE_PGM_RSRC2:SCRATCH_EN: 0
; COMPUTE_PGM_RSRC2:USER_SGPR: 2
; COMPUTE_PGM_RSRC2:TRAP_HANDLER: 0
; COMPUTE_PGM_RSRC2:TGID_X_EN: 1
; COMPUTE_PGM_RSRC2:TGID_Y_EN: 0
; COMPUTE_PGM_RSRC2:TGID_Z_EN: 0
; COMPUTE_PGM_RSRC2:TIDIG_COMP_CNT: 0
; COMPUTE_PGM_RSRC3_GFX90A:ACCUM_OFFSET: 6
; COMPUTE_PGM_RSRC3_GFX90A:TG_SPLIT: 0
	.section	.text._ZN2at6native12cross_kernelIf16OffsetCalculatorILi3EjLb0EElEEviPT_PKS4_S7_T0_T1_S9_S9_,"axG",@progbits,_ZN2at6native12cross_kernelIf16OffsetCalculatorILi3EjLb0EElEEviPT_PKS4_S7_T0_T1_S9_S9_,comdat
	.protected	_ZN2at6native12cross_kernelIf16OffsetCalculatorILi3EjLb0EElEEviPT_PKS4_S7_T0_T1_S9_S9_ ; -- Begin function _ZN2at6native12cross_kernelIf16OffsetCalculatorILi3EjLb0EElEEviPT_PKS4_S7_T0_T1_S9_S9_
	.globl	_ZN2at6native12cross_kernelIf16OffsetCalculatorILi3EjLb0EElEEviPT_PKS4_S7_T0_T1_S9_S9_
	.p2align	8
	.type	_ZN2at6native12cross_kernelIf16OffsetCalculatorILi3EjLb0EElEEviPT_PKS4_S7_T0_T1_S9_S9_,@function
_ZN2at6native12cross_kernelIf16OffsetCalculatorILi3EjLb0EElEEviPT_PKS4_S7_T0_T1_S9_S9_: ; @_ZN2at6native12cross_kernelIf16OffsetCalculatorILi3EjLb0EElEEviPT_PKS4_S7_T0_T1_S9_S9_
; %bb.0:
	s_load_dword s24, s[0:1], 0x0
	s_load_dword s3, s[0:1], 0x1cc
	v_mov_b32_e32 v1, 0
	v_mov_b32_e32 v2, s2
	s_waitcnt lgkmcnt(0)
	s_ashr_i32 s25, s24, 31
	s_add_u32 s20, s0, 0x1c0
	s_addc_u32 s21, s1, 0
	s_and_b32 s28, s3, 0xffff
	v_mad_u64_u32 v[2:3], s[2:3], s28, v2, v[0:1]
	v_cmp_gt_i64_e32 vcc, s[24:25], v[2:3]
	s_and_saveexec_b64 s[2:3], vcc
	s_cbranch_execz .LBB12_13
; %bb.1:
	s_load_dwordx8 s[4:11], s[0:1], 0x20
	s_load_dwordx4 s[12:15], s[0:1], 0x8
	s_load_dwordx2 s[2:3], s[0:1], 0x18
	s_load_dwordx2 s[44:45], s[0:1], 0x1b8
	s_load_dwordx4 s[16:19], s[0:1], 0x1a8
	s_load_dword s33, s[20:21], 0x0
	s_waitcnt lgkmcnt(0)
	s_add_i32 s11, s4, -1
	s_cmp_gt_u32 s11, 1
	s_cselect_b64 s[26:27], -1, 0
	s_cmp_lg_u32 s4, 0
	s_cselect_b64 s[30:31], -1, 0
	s_min_u32 s40, s11, 15
	s_cmp_gt_u32 s4, 1
	s_cselect_b64 s[36:37], -1, 0
	s_mov_b32 s4, s9
	s_add_i32 s9, s40, 1
	s_lshl_b64 s[38:39], s[44:45], 3
	s_and_b32 s9, s9, 30
	s_load_dwordx4 s[20:23], s[0:1], 0xe4
	s_load_dwordx2 s[34:35], s[0:1], 0xf4
	s_bitcmp0_b32 s40, 0
	s_cselect_b64 s[40:41], -1, 0
	s_lshl_b64 s[42:43], s[18:19], 2
	s_lshl_b64 s[46:47], s[44:45], 2
	s_sub_u32 s46, 0, s46
	s_subb_u32 s47, 0, s47
	s_lshl_b64 s[48:49], s[16:17], 2
	s_add_u32 s0, s0, 12
	s_mov_b32 s29, 0
	s_waitcnt lgkmcnt(0)
	s_mov_b32 s11, s21
	s_mov_b32 s21, s22
	s_mul_i32 s28, s33, s28
	s_mov_b64 s[44:45], 0
	s_addc_u32 s1, s1, 0
	s_branch .LBB12_3
.LBB12_2:                               ;   in Loop: Header=BB12_3 Depth=1
	v_mov_b32_e32 v7, v1
	v_lshl_add_u64 v[6:7], v[6:7], 2, s[14:15]
	v_mov_b32_e32 v5, v1
	v_lshl_add_u64 v[4:5], v[4:5], 2, s[2:3]
	v_lshl_add_u64 v[8:9], s[18:19], 2, v[6:7]
	global_load_dword v12, v[8:9], off
	v_lshl_add_u64 v[10:11], v[4:5], 0, s[38:39]
	v_lshl_add_u64 v[8:9], v[8:9], 0, s[42:43]
	global_load_dword v13, v[10:11], off
	global_load_dword v14, v[8:9], off
	v_lshl_add_u64 v[8:9], v[10:11], 0, s[46:47]
	global_load_dword v10, v[6:7], off
	global_load_dword v11, v[4:5], off
	global_load_dword v15, v[8:9], off
	v_lshl_add_u64 v[2:3], v[2:3], 0, s[28:29]
	v_lshl_add_u64 v[4:5], v[0:1], 2, s[12:13]
	v_cmp_le_i64_e32 vcc, s[24:25], v[2:3]
	v_lshl_add_u64 v[6:7], s[16:17], 2, v[4:5]
	s_or_b64 s[44:45], vcc, s[44:45]
	v_lshl_add_u64 v[8:9], v[6:7], 0, s[48:49]
	s_waitcnt vmcnt(2)
	v_mul_f32_e32 v0, v13, v10
	s_waitcnt vmcnt(1)
	v_mul_f32_e32 v16, v12, v11
	;; [unrolled: 2-line block ×3, first 2 shown]
	v_fma_f32 v0, v14, v11, -v0
	v_fma_f32 v11, v12, v13, -v17
	;; [unrolled: 1-line block ×3, first 2 shown]
	global_store_dword v[4:5], v11, off
	global_store_dword v[6:7], v0, off
	;; [unrolled: 1-line block ×3, first 2 shown]
	s_andn2_b64 exec, exec, s[44:45]
	s_cbranch_execz .LBB12_13
.LBB12_3:                               ; =>This Loop Header: Depth=1
                                        ;     Child Loop BB12_6 Depth 2
	s_andn2_b64 vcc, exec, s[26:27]
	s_cbranch_vccnz .LBB12_10
; %bb.4:                                ;   in Loop: Header=BB12_3 Depth=1
	s_andn2_b64 vcc, exec, s[30:31]
	v_mov_b32_e32 v4, 0
	v_mov_b32_e32 v6, 0
	;; [unrolled: 1-line block ×3, first 2 shown]
	s_cbranch_vccnz .LBB12_9
; %bb.5:                                ;   in Loop: Header=BB12_3 Depth=1
	v_mov_b32_e32 v0, 0
	s_mov_b32 s22, s9
	s_mov_b64 s[50:51], s[0:1]
	v_mov_b32_e32 v5, v2
	v_mov_b32_e32 v6, v0
	;; [unrolled: 1-line block ×3, first 2 shown]
.LBB12_6:                               ;   Parent Loop BB12_3 Depth=1
                                        ; =>  This Inner Loop Header: Depth=2
	s_mov_b64 s[60:61], s[50:51]
	s_load_dwordx4 s[52:55], s[60:61], 0x18
	s_load_dwordx2 s[62:63], s[60:61], 0x28
	s_load_dwordx2 s[64:65], s[60:61], 0xe8
	s_load_dwordx4 s[56:59], s[60:61], 0xd8
	s_add_u32 s50, s60, 24
	s_waitcnt lgkmcnt(0)
	v_mul_hi_u32 v7, s53, v5
	v_add_u32_e32 v7, v5, v7
	v_lshrrev_b32_e32 v7, s54, v7
	v_mul_lo_u32 v8, v7, s52
	v_mul_hi_u32 v9, s62, v7
	v_sub_u32_e32 v5, v5, v8
	v_add_u32_e32 v8, v7, v9
	v_mul_lo_u32 v9, v5, s56
	v_mul_lo_u32 v10, v5, s57
	;; [unrolled: 1-line block ×3, first 2 shown]
	v_lshrrev_b32_e32 v5, s63, v8
	v_mul_lo_u32 v8, v5, s55
	v_sub_u32_e32 v7, v7, v8
	s_addc_u32 s51, s61, 0
	s_add_i32 s22, s22, -2
	v_mul_lo_u32 v8, v7, s59
	v_mul_lo_u32 v12, v7, s64
	;; [unrolled: 1-line block ×3, first 2 shown]
	s_cmp_lg_u32 s22, 0
	v_add3_u32 v0, v9, v0, v8
	v_add3_u32 v4, v11, v4, v7
	;; [unrolled: 1-line block ×3, first 2 shown]
	s_cbranch_scc1 .LBB12_6
; %bb.7:                                ;   in Loop: Header=BB12_3 Depth=1
	s_andn2_b64 vcc, exec, s[40:41]
	s_cbranch_vccnz .LBB12_9
; %bb.8:                                ;   in Loop: Header=BB12_3 Depth=1
	s_load_dwordx2 s[52:53], s[50:51], 0x18
	s_load_dword s22, s[50:51], 0x20
	s_load_dword s33, s[50:51], 0xe0
	s_nop 0
	s_load_dwordx2 s[50:51], s[50:51], 0xd8
	s_waitcnt lgkmcnt(0)
	v_mul_hi_u32 v7, s53, v5
	v_add_u32_e32 v7, v5, v7
	v_lshrrev_b32_e32 v7, s22, v7
	v_mul_lo_u32 v7, v7, s52
	v_sub_u32_e32 v5, v5, v7
	v_mad_u64_u32 v[8:9], s[52:53], v5, s50, v[0:1]
	v_mad_u64_u32 v[6:7], s[50:51], v5, s51, v[6:7]
	v_mad_u64_u32 v[4:5], s[50:51], v5, s33, v[4:5]
	v_mov_b32_e32 v0, v8
.LBB12_9:                               ;   in Loop: Header=BB12_3 Depth=1
	s_cbranch_execnz .LBB12_2
	s_branch .LBB12_11
.LBB12_10:                              ;   in Loop: Header=BB12_3 Depth=1
                                        ; implicit-def: $vgpr4
                                        ; implicit-def: $vgpr6
.LBB12_11:                              ;   in Loop: Header=BB12_3 Depth=1
	v_mul_hi_u32 v0, v2, s6
	v_add_u32_e32 v0, v0, v2
	v_lshrrev_b32_e32 v5, s7, v0
	v_mul_lo_u32 v0, v5, s5
	v_sub_u32_e32 v6, v2, v0
	v_mul_lo_u32 v0, v6, s20
	v_mul_lo_u32 v4, v6, s21
	s_andn2_b64 vcc, exec, s[36:37]
	v_mul_lo_u32 v6, v6, s11
	s_cbranch_vccnz .LBB12_2
; %bb.12:                               ;   in Loop: Header=BB12_3 Depth=1
	v_mul_hi_u32 v7, s4, v5
	v_add_u32_e32 v7, v5, v7
	v_lshrrev_b32_e32 v7, s10, v7
	v_mul_lo_u32 v7, v7, s8
	v_sub_u32_e32 v5, v5, v7
	v_mad_u64_u32 v[8:9], s[50:51], v5, s23, v[0:1]
	v_mad_u64_u32 v[6:7], s[50:51], v5, s34, v[6:7]
	;; [unrolled: 1-line block ×3, first 2 shown]
	v_mov_b32_e32 v0, v8
	s_branch .LBB12_2
.LBB12_13:
	s_endpgm
	.section	.rodata,"a",@progbits
	.p2align	6, 0x0
	.amdhsa_kernel _ZN2at6native12cross_kernelIf16OffsetCalculatorILi3EjLb0EElEEviPT_PKS4_S7_T0_T1_S9_S9_
		.amdhsa_group_segment_fixed_size 0
		.amdhsa_private_segment_fixed_size 0
		.amdhsa_kernarg_size 704
		.amdhsa_user_sgpr_count 2
		.amdhsa_user_sgpr_dispatch_ptr 0
		.amdhsa_user_sgpr_queue_ptr 0
		.amdhsa_user_sgpr_kernarg_segment_ptr 1
		.amdhsa_user_sgpr_dispatch_id 0
		.amdhsa_user_sgpr_kernarg_preload_length 0
		.amdhsa_user_sgpr_kernarg_preload_offset 0
		.amdhsa_user_sgpr_private_segment_size 0
		.amdhsa_uses_dynamic_stack 0
		.amdhsa_enable_private_segment 0
		.amdhsa_system_sgpr_workgroup_id_x 1
		.amdhsa_system_sgpr_workgroup_id_y 0
		.amdhsa_system_sgpr_workgroup_id_z 0
		.amdhsa_system_sgpr_workgroup_info 0
		.amdhsa_system_vgpr_workitem_id 0
		.amdhsa_next_free_vgpr 18
		.amdhsa_next_free_sgpr 66
		.amdhsa_accum_offset 20
		.amdhsa_reserve_vcc 1
		.amdhsa_float_round_mode_32 0
		.amdhsa_float_round_mode_16_64 0
		.amdhsa_float_denorm_mode_32 3
		.amdhsa_float_denorm_mode_16_64 3
		.amdhsa_dx10_clamp 1
		.amdhsa_ieee_mode 1
		.amdhsa_fp16_overflow 0
		.amdhsa_tg_split 0
		.amdhsa_exception_fp_ieee_invalid_op 0
		.amdhsa_exception_fp_denorm_src 0
		.amdhsa_exception_fp_ieee_div_zero 0
		.amdhsa_exception_fp_ieee_overflow 0
		.amdhsa_exception_fp_ieee_underflow 0
		.amdhsa_exception_fp_ieee_inexact 0
		.amdhsa_exception_int_div_zero 0
	.end_amdhsa_kernel
	.section	.text._ZN2at6native12cross_kernelIf16OffsetCalculatorILi3EjLb0EElEEviPT_PKS4_S7_T0_T1_S9_S9_,"axG",@progbits,_ZN2at6native12cross_kernelIf16OffsetCalculatorILi3EjLb0EElEEviPT_PKS4_S7_T0_T1_S9_S9_,comdat
.Lfunc_end12:
	.size	_ZN2at6native12cross_kernelIf16OffsetCalculatorILi3EjLb0EElEEviPT_PKS4_S7_T0_T1_S9_S9_, .Lfunc_end12-_ZN2at6native12cross_kernelIf16OffsetCalculatorILi3EjLb0EElEEviPT_PKS4_S7_T0_T1_S9_S9_
                                        ; -- End function
	.section	.AMDGPU.csdata,"",@progbits
; Kernel info:
; codeLenInByte = 952
; NumSgprs: 72
; NumVgprs: 18
; NumAgprs: 0
; TotalNumVgprs: 18
; ScratchSize: 0
; MemoryBound: 0
; FloatMode: 240
; IeeeMode: 1
; LDSByteSize: 0 bytes/workgroup (compile time only)
; SGPRBlocks: 8
; VGPRBlocks: 2
; NumSGPRsForWavesPerEU: 72
; NumVGPRsForWavesPerEU: 18
; AccumOffset: 20
; Occupancy: 8
; WaveLimiterHint : 1
; COMPUTE_PGM_RSRC2:SCRATCH_EN: 0
; COMPUTE_PGM_RSRC2:USER_SGPR: 2
; COMPUTE_PGM_RSRC2:TRAP_HANDLER: 0
; COMPUTE_PGM_RSRC2:TGID_X_EN: 1
; COMPUTE_PGM_RSRC2:TGID_Y_EN: 0
; COMPUTE_PGM_RSRC2:TGID_Z_EN: 0
; COMPUTE_PGM_RSRC2:TIDIG_COMP_CNT: 0
; COMPUTE_PGM_RSRC3_GFX90A:ACCUM_OFFSET: 4
; COMPUTE_PGM_RSRC3_GFX90A:TG_SPLIT: 0
	.section	.text._ZN2at6native12cross_kernelIf16OffsetCalculatorILi3EjLb0EEiEEviPT_PKS4_S7_T0_T1_S9_S9_,"axG",@progbits,_ZN2at6native12cross_kernelIf16OffsetCalculatorILi3EjLb0EEiEEviPT_PKS4_S7_T0_T1_S9_S9_,comdat
	.protected	_ZN2at6native12cross_kernelIf16OffsetCalculatorILi3EjLb0EEiEEviPT_PKS4_S7_T0_T1_S9_S9_ ; -- Begin function _ZN2at6native12cross_kernelIf16OffsetCalculatorILi3EjLb0EEiEEviPT_PKS4_S7_T0_T1_S9_S9_
	.globl	_ZN2at6native12cross_kernelIf16OffsetCalculatorILi3EjLb0EEiEEviPT_PKS4_S7_T0_T1_S9_S9_
	.p2align	8
	.type	_ZN2at6native12cross_kernelIf16OffsetCalculatorILi3EjLb0EEiEEviPT_PKS4_S7_T0_T1_S9_S9_,@function
_ZN2at6native12cross_kernelIf16OffsetCalculatorILi3EjLb0EEiEEviPT_PKS4_S7_T0_T1_S9_S9_: ; @_ZN2at6native12cross_kernelIf16OffsetCalculatorILi3EjLb0EEiEEviPT_PKS4_S7_T0_T1_S9_S9_
; %bb.0:
	s_load_dword s24, s[0:1], 0x0
	s_load_dword s3, s[0:1], 0x1bc
	v_mov_b32_e32 v1, 0
	v_mov_b32_e32 v2, s2
	s_waitcnt lgkmcnt(0)
	s_ashr_i32 s25, s24, 31
	s_add_u32 s20, s0, 0x1b0
	s_addc_u32 s21, s1, 0
	s_and_b32 s28, s3, 0xffff
	v_mad_u64_u32 v[2:3], s[2:3], s28, v2, v[0:1]
	v_cmp_gt_i64_e32 vcc, s[24:25], v[2:3]
	s_and_saveexec_b64 s[2:3], vcc
	s_cbranch_execz .LBB13_13
; %bb.1:
	s_load_dwordx8 s[4:11], s[0:1], 0x20
	s_load_dwordx4 s[12:15], s[0:1], 0x8
	s_load_dwordx2 s[2:3], s[0:1], 0x18
	s_load_dwordx4 s[16:19], s[0:1], 0x1a4
	s_waitcnt lgkmcnt(0)
	s_load_dword s19, s[20:21], 0x0
	s_add_i32 s11, s4, -1
	s_cmp_gt_u32 s11, 1
	s_cselect_b64 s[26:27], -1, 0
	s_cmp_lg_u32 s4, 0
	s_cselect_b64 s[30:31], -1, 0
	s_min_u32 s33, s11, 15
	s_cmp_gt_u32 s4, 1
	s_cselect_b64 s[36:37], -1, 0
	s_mov_b32 s4, s9
	s_lshl_b32 s40, s18, 1
	s_add_i32 s9, s33, 1
	s_ashr_i32 s39, s17, 31
	s_mov_b32 s38, s17
	s_ashr_i32 s41, s40, 31
	s_ashr_i32 s17, s16, 31
	s_and_b32 s9, s9, 30
	s_bitcmp0_b32 s33, 0
                                        ; kill: killed $sgpr20 killed $sgpr21
	s_load_dwordx4 s[20:23], s[0:1], 0xe4
	s_load_dwordx2 s[34:35], s[0:1], 0xf4
	s_waitcnt lgkmcnt(0)
	s_mul_i32 s28, s19, s28
	s_cselect_b64 s[42:43], -1, 0
	s_ashr_i32 s19, s18, 31
	s_lshl_b64 s[44:45], s[38:39], 2
	s_lshl_b64 s[46:47], s[18:19], 2
	s_sub_u32 s46, 0, s46
	s_subb_u32 s47, 0, s47
	s_lshl_b64 s[48:49], s[16:17], 2
	s_add_u32 s0, s0, 12
	s_mov_b32 s29, 0
	s_mov_b32 s11, s21
	s_mov_b32 s21, s22
	s_mov_b64 s[18:19], 0
	s_addc_u32 s1, s1, 0
	s_branch .LBB13_3
.LBB13_2:                               ;   in Loop: Header=BB13_3 Depth=1
	v_mov_b32_e32 v7, v1
	v_lshl_add_u64 v[6:7], v[6:7], 2, s[14:15]
	v_mov_b32_e32 v5, v1
	v_lshl_add_u64 v[4:5], v[4:5], 2, s[2:3]
	v_lshl_add_u64 v[8:9], s[38:39], 2, v[6:7]
	global_load_dword v12, v[8:9], off
	v_lshl_add_u64 v[10:11], s[40:41], 2, v[4:5]
	v_lshl_add_u64 v[8:9], v[8:9], 0, s[44:45]
	global_load_dword v13, v[10:11], off
	global_load_dword v14, v[8:9], off
	v_lshl_add_u64 v[8:9], v[10:11], 0, s[46:47]
	global_load_dword v10, v[6:7], off
	global_load_dword v11, v[4:5], off
	;; [unrolled: 1-line block ×3, first 2 shown]
	v_lshl_add_u64 v[2:3], v[2:3], 0, s[28:29]
	v_lshl_add_u64 v[4:5], v[0:1], 2, s[12:13]
	v_cmp_le_i64_e32 vcc, s[24:25], v[2:3]
	v_lshl_add_u64 v[6:7], s[16:17], 2, v[4:5]
	s_or_b64 s[18:19], vcc, s[18:19]
	v_lshl_add_u64 v[8:9], v[6:7], 0, s[48:49]
	s_waitcnt vmcnt(2)
	v_mul_f32_e32 v0, v13, v10
	s_waitcnt vmcnt(1)
	v_mul_f32_e32 v16, v12, v11
	;; [unrolled: 2-line block ×3, first 2 shown]
	v_fma_f32 v0, v14, v11, -v0
	v_fma_f32 v11, v12, v13, -v17
	;; [unrolled: 1-line block ×3, first 2 shown]
	global_store_dword v[4:5], v11, off
	global_store_dword v[6:7], v0, off
	global_store_dword v[8:9], v10, off
	s_andn2_b64 exec, exec, s[18:19]
	s_cbranch_execz .LBB13_13
.LBB13_3:                               ; =>This Loop Header: Depth=1
                                        ;     Child Loop BB13_6 Depth 2
	s_andn2_b64 vcc, exec, s[26:27]
	s_cbranch_vccnz .LBB13_10
; %bb.4:                                ;   in Loop: Header=BB13_3 Depth=1
	s_andn2_b64 vcc, exec, s[30:31]
	v_mov_b32_e32 v4, 0
	v_mov_b32_e32 v6, 0
	;; [unrolled: 1-line block ×3, first 2 shown]
	s_cbranch_vccnz .LBB13_9
; %bb.5:                                ;   in Loop: Header=BB13_3 Depth=1
	v_mov_b32_e32 v0, 0
	s_mov_b32 s22, s9
	s_mov_b64 s[50:51], s[0:1]
	v_mov_b32_e32 v5, v2
	v_mov_b32_e32 v6, v0
	;; [unrolled: 1-line block ×3, first 2 shown]
.LBB13_6:                               ;   Parent Loop BB13_3 Depth=1
                                        ; =>  This Inner Loop Header: Depth=2
	s_mov_b64 s[60:61], s[50:51]
	s_load_dwordx4 s[52:55], s[60:61], 0x18
	s_load_dwordx2 s[62:63], s[60:61], 0x28
	s_load_dwordx2 s[64:65], s[60:61], 0xe8
	s_load_dwordx4 s[56:59], s[60:61], 0xd8
	s_add_u32 s50, s60, 24
	s_waitcnt lgkmcnt(0)
	v_mul_hi_u32 v7, s53, v5
	v_add_u32_e32 v7, v5, v7
	v_lshrrev_b32_e32 v7, s54, v7
	v_mul_lo_u32 v8, v7, s52
	v_mul_hi_u32 v9, s62, v7
	v_sub_u32_e32 v5, v5, v8
	v_add_u32_e32 v8, v7, v9
	v_mul_lo_u32 v9, v5, s56
	v_mul_lo_u32 v10, v5, s57
	;; [unrolled: 1-line block ×3, first 2 shown]
	v_lshrrev_b32_e32 v5, s63, v8
	v_mul_lo_u32 v8, v5, s55
	v_sub_u32_e32 v7, v7, v8
	s_addc_u32 s51, s61, 0
	s_add_i32 s22, s22, -2
	v_mul_lo_u32 v8, v7, s59
	v_mul_lo_u32 v12, v7, s64
	;; [unrolled: 1-line block ×3, first 2 shown]
	s_cmp_lg_u32 s22, 0
	v_add3_u32 v0, v9, v0, v8
	v_add3_u32 v4, v11, v4, v7
	;; [unrolled: 1-line block ×3, first 2 shown]
	s_cbranch_scc1 .LBB13_6
; %bb.7:                                ;   in Loop: Header=BB13_3 Depth=1
	s_andn2_b64 vcc, exec, s[42:43]
	s_cbranch_vccnz .LBB13_9
; %bb.8:                                ;   in Loop: Header=BB13_3 Depth=1
	s_load_dwordx2 s[52:53], s[50:51], 0x18
	s_load_dword s22, s[50:51], 0x20
	s_load_dword s33, s[50:51], 0xe0
	s_nop 0
	s_load_dwordx2 s[50:51], s[50:51], 0xd8
	s_waitcnt lgkmcnt(0)
	v_mul_hi_u32 v7, s53, v5
	v_add_u32_e32 v7, v5, v7
	v_lshrrev_b32_e32 v7, s22, v7
	v_mul_lo_u32 v7, v7, s52
	v_sub_u32_e32 v5, v5, v7
	v_mad_u64_u32 v[8:9], s[52:53], v5, s50, v[0:1]
	v_mad_u64_u32 v[6:7], s[50:51], v5, s51, v[6:7]
	;; [unrolled: 1-line block ×3, first 2 shown]
	v_mov_b32_e32 v0, v8
.LBB13_9:                               ;   in Loop: Header=BB13_3 Depth=1
	s_cbranch_execnz .LBB13_2
	s_branch .LBB13_11
.LBB13_10:                              ;   in Loop: Header=BB13_3 Depth=1
                                        ; implicit-def: $vgpr4
                                        ; implicit-def: $vgpr6
.LBB13_11:                              ;   in Loop: Header=BB13_3 Depth=1
	v_mul_hi_u32 v0, v2, s6
	v_add_u32_e32 v0, v0, v2
	v_lshrrev_b32_e32 v5, s7, v0
	v_mul_lo_u32 v0, v5, s5
	v_sub_u32_e32 v6, v2, v0
	v_mul_lo_u32 v0, v6, s20
	v_mul_lo_u32 v4, v6, s21
	s_andn2_b64 vcc, exec, s[36:37]
	v_mul_lo_u32 v6, v6, s11
	s_cbranch_vccnz .LBB13_2
; %bb.12:                               ;   in Loop: Header=BB13_3 Depth=1
	v_mul_hi_u32 v7, s4, v5
	v_add_u32_e32 v7, v5, v7
	v_lshrrev_b32_e32 v7, s10, v7
	v_mul_lo_u32 v7, v7, s8
	v_sub_u32_e32 v5, v5, v7
	v_mad_u64_u32 v[8:9], s[50:51], v5, s23, v[0:1]
	v_mad_u64_u32 v[6:7], s[50:51], v5, s34, v[6:7]
	v_mad_u64_u32 v[4:5], s[50:51], v5, s35, v[4:5]
	v_mov_b32_e32 v0, v8
	s_branch .LBB13_2
.LBB13_13:
	s_endpgm
	.section	.rodata,"a",@progbits
	.p2align	6, 0x0
	.amdhsa_kernel _ZN2at6native12cross_kernelIf16OffsetCalculatorILi3EjLb0EEiEEviPT_PKS4_S7_T0_T1_S9_S9_
		.amdhsa_group_segment_fixed_size 0
		.amdhsa_private_segment_fixed_size 0
		.amdhsa_kernarg_size 688
		.amdhsa_user_sgpr_count 2
		.amdhsa_user_sgpr_dispatch_ptr 0
		.amdhsa_user_sgpr_queue_ptr 0
		.amdhsa_user_sgpr_kernarg_segment_ptr 1
		.amdhsa_user_sgpr_dispatch_id 0
		.amdhsa_user_sgpr_kernarg_preload_length 0
		.amdhsa_user_sgpr_kernarg_preload_offset 0
		.amdhsa_user_sgpr_private_segment_size 0
		.amdhsa_uses_dynamic_stack 0
		.amdhsa_enable_private_segment 0
		.amdhsa_system_sgpr_workgroup_id_x 1
		.amdhsa_system_sgpr_workgroup_id_y 0
		.amdhsa_system_sgpr_workgroup_id_z 0
		.amdhsa_system_sgpr_workgroup_info 0
		.amdhsa_system_vgpr_workitem_id 0
		.amdhsa_next_free_vgpr 18
		.amdhsa_next_free_sgpr 66
		.amdhsa_accum_offset 20
		.amdhsa_reserve_vcc 1
		.amdhsa_float_round_mode_32 0
		.amdhsa_float_round_mode_16_64 0
		.amdhsa_float_denorm_mode_32 3
		.amdhsa_float_denorm_mode_16_64 3
		.amdhsa_dx10_clamp 1
		.amdhsa_ieee_mode 1
		.amdhsa_fp16_overflow 0
		.amdhsa_tg_split 0
		.amdhsa_exception_fp_ieee_invalid_op 0
		.amdhsa_exception_fp_denorm_src 0
		.amdhsa_exception_fp_ieee_div_zero 0
		.amdhsa_exception_fp_ieee_overflow 0
		.amdhsa_exception_fp_ieee_underflow 0
		.amdhsa_exception_fp_ieee_inexact 0
		.amdhsa_exception_int_div_zero 0
	.end_amdhsa_kernel
	.section	.text._ZN2at6native12cross_kernelIf16OffsetCalculatorILi3EjLb0EEiEEviPT_PKS4_S7_T0_T1_S9_S9_,"axG",@progbits,_ZN2at6native12cross_kernelIf16OffsetCalculatorILi3EjLb0EEiEEviPT_PKS4_S7_T0_T1_S9_S9_,comdat
.Lfunc_end13:
	.size	_ZN2at6native12cross_kernelIf16OffsetCalculatorILi3EjLb0EEiEEviPT_PKS4_S7_T0_T1_S9_S9_, .Lfunc_end13-_ZN2at6native12cross_kernelIf16OffsetCalculatorILi3EjLb0EEiEEviPT_PKS4_S7_T0_T1_S9_S9_
                                        ; -- End function
	.section	.AMDGPU.csdata,"",@progbits
; Kernel info:
; codeLenInByte = 964
; NumSgprs: 72
; NumVgprs: 18
; NumAgprs: 0
; TotalNumVgprs: 18
; ScratchSize: 0
; MemoryBound: 0
; FloatMode: 240
; IeeeMode: 1
; LDSByteSize: 0 bytes/workgroup (compile time only)
; SGPRBlocks: 8
; VGPRBlocks: 2
; NumSGPRsForWavesPerEU: 72
; NumVGPRsForWavesPerEU: 18
; AccumOffset: 20
; Occupancy: 8
; WaveLimiterHint : 1
; COMPUTE_PGM_RSRC2:SCRATCH_EN: 0
; COMPUTE_PGM_RSRC2:USER_SGPR: 2
; COMPUTE_PGM_RSRC2:TRAP_HANDLER: 0
; COMPUTE_PGM_RSRC2:TGID_X_EN: 1
; COMPUTE_PGM_RSRC2:TGID_Y_EN: 0
; COMPUTE_PGM_RSRC2:TGID_Z_EN: 0
; COMPUTE_PGM_RSRC2:TIDIG_COMP_CNT: 0
; COMPUTE_PGM_RSRC3_GFX90A:ACCUM_OFFSET: 4
; COMPUTE_PGM_RSRC3_GFX90A:TG_SPLIT: 0
	.section	.text._ZN2at6native12cross_kernelIN3c107complexIdEE16OffsetCalculatorILi3EjLb0EElEEviPT_PKS7_SA_T0_T1_SC_SC_,"axG",@progbits,_ZN2at6native12cross_kernelIN3c107complexIdEE16OffsetCalculatorILi3EjLb0EElEEviPT_PKS7_SA_T0_T1_SC_SC_,comdat
	.protected	_ZN2at6native12cross_kernelIN3c107complexIdEE16OffsetCalculatorILi3EjLb0EElEEviPT_PKS7_SA_T0_T1_SC_SC_ ; -- Begin function _ZN2at6native12cross_kernelIN3c107complexIdEE16OffsetCalculatorILi3EjLb0EElEEviPT_PKS7_SA_T0_T1_SC_SC_
	.globl	_ZN2at6native12cross_kernelIN3c107complexIdEE16OffsetCalculatorILi3EjLb0EElEEviPT_PKS7_SA_T0_T1_SC_SC_
	.p2align	8
	.type	_ZN2at6native12cross_kernelIN3c107complexIdEE16OffsetCalculatorILi3EjLb0EElEEviPT_PKS7_SA_T0_T1_SC_SC_,@function
_ZN2at6native12cross_kernelIN3c107complexIdEE16OffsetCalculatorILi3EjLb0EElEEviPT_PKS7_SA_T0_T1_SC_SC_: ; @_ZN2at6native12cross_kernelIN3c107complexIdEE16OffsetCalculatorILi3EjLb0EElEEviPT_PKS7_SA_T0_T1_SC_SC_
; %bb.0:
	s_load_dword s24, s[0:1], 0x0
	s_load_dword s3, s[0:1], 0x1cc
	v_mov_b32_e32 v1, 0
	v_mov_b32_e32 v2, s2
	s_waitcnt lgkmcnt(0)
	s_ashr_i32 s25, s24, 31
	s_add_u32 s20, s0, 0x1c0
	s_addc_u32 s21, s1, 0
	s_and_b32 s28, s3, 0xffff
	v_mad_u64_u32 v[10:11], s[2:3], s28, v2, v[0:1]
	v_cmp_gt_i64_e32 vcc, s[24:25], v[10:11]
	s_and_saveexec_b64 s[2:3], vcc
	s_cbranch_execz .LBB14_13
; %bb.1:
	s_load_dwordx8 s[4:11], s[0:1], 0x20
	s_load_dwordx4 s[12:15], s[0:1], 0x8
	s_load_dwordx2 s[2:3], s[0:1], 0x18
	s_load_dwordx2 s[44:45], s[0:1], 0x1b8
	s_load_dwordx4 s[16:19], s[0:1], 0x1a8
	s_load_dword s33, s[20:21], 0x0
	s_waitcnt lgkmcnt(0)
	s_add_i32 s11, s4, -1
	s_cmp_gt_u32 s11, 1
	s_cselect_b64 s[26:27], -1, 0
	s_cmp_lg_u32 s4, 0
	s_cselect_b64 s[30:31], -1, 0
	s_min_u32 s40, s11, 15
	s_cmp_gt_u32 s4, 1
	s_cselect_b64 s[36:37], -1, 0
	s_mov_b32 s4, s9
	s_add_i32 s9, s40, 1
	s_lshl_b64 s[38:39], s[44:45], 5
	s_and_b32 s9, s9, 30
	s_load_dwordx4 s[20:23], s[0:1], 0xe4
	s_load_dwordx2 s[34:35], s[0:1], 0xf4
	s_bitcmp0_b32 s40, 0
	s_cselect_b64 s[40:41], -1, 0
	s_lshl_b64 s[42:43], s[18:19], 4
	s_lshl_b64 s[46:47], s[44:45], 4
	s_sub_u32 s46, 0, s46
	s_subb_u32 s47, 0, s47
	s_lshl_b64 s[48:49], s[16:17], 4
	s_add_u32 s0, s0, 12
	s_mov_b32 s29, 0
	s_waitcnt lgkmcnt(0)
	s_mov_b32 s11, s21
	s_mov_b32 s21, s22
	s_mul_i32 s28, s33, s28
	s_mov_b64 s[44:45], 0
	s_addc_u32 s1, s1, 0
	s_branch .LBB14_3
.LBB14_2:                               ;   in Loop: Header=BB14_3 Depth=1
	v_mov_b32_e32 v3, v1
	v_mov_b32_e32 v5, v1
	v_lshl_add_u64 v[22:23], v[2:3], 4, s[2:3]
	v_lshl_add_u64 v[20:21], v[4:5], 4, s[14:15]
	;; [unrolled: 1-line block ×5, first 2 shown]
	global_load_dwordx4 v[2:5], v[26:27], off
	global_load_dwordx4 v[6:9], v[24:25], off
	;; [unrolled: 1-line block ×4, first 2 shown]
	v_lshl_add_u64 v[28:29], v[24:25], 0, s[42:43]
	global_load_dwordx4 v[20:23], v[30:31], off
	global_load_dwordx4 v[24:27], v[28:29], off
	v_lshl_add_u64 v[10:11], v[10:11], 0, s[28:29]
	v_lshl_add_u64 v[28:29], v[0:1], 4, s[12:13]
	v_cmp_le_i64_e32 vcc, s[24:25], v[10:11]
	v_lshl_add_u64 v[30:31], s[16:17], 4, v[28:29]
	s_or_b64 s[44:45], vcc, s[44:45]
	v_lshl_add_u64 v[32:33], v[30:31], 0, s[48:49]
	s_waitcnt vmcnt(4)
	v_mul_f64 v[34:35], v[4:5], v[8:9]
	v_mul_f64 v[36:37], v[2:3], v[8:9]
	s_waitcnt vmcnt(3)
	v_mul_f64 v[38:39], v[4:5], v[14:15]
	v_mul_f64 v[40:41], v[2:3], v[14:15]
	;; [unrolled: 3-line block ×3, first 2 shown]
	v_mul_f64 v[42:43], v[8:9], v[18:19]
	v_mul_f64 v[44:45], v[6:7], v[18:19]
	v_fma_f64 v[34:35], v[2:3], v[6:7], -v[34:35]
	v_fmac_f64_e32 v[36:37], v[4:5], v[6:7]
	v_mul_f64 v[50:51], v[26:27], v[18:19]
	v_mul_f64 v[18:19], v[24:25], v[18:19]
	v_fma_f64 v[38:39], v[2:3], v[12:13], -v[38:39]
	v_fmac_f64_e32 v[40:41], v[4:5], v[12:13]
	;; [unrolled: 4-line block ×3, first 2 shown]
	v_fma_f64 v[42:43], v[6:7], v[16:17], -v[42:43]
	v_fmac_f64_e32 v[44:45], v[8:9], v[16:17]
	v_fma_f64 v[6:7], v[24:25], v[16:17], -v[50:51]
	v_fmac_f64_e32 v[18:19], v[26:27], v[16:17]
	;; [unrolled: 2-line block ×3, first 2 shown]
	v_add_f64 v[2:3], v[34:35], -v[4:5]
	v_add_f64 v[4:5], v[36:37], -v[48:49]
	;; [unrolled: 1-line block ×6, first 2 shown]
	global_store_dwordx4 v[28:29], v[2:5], off
	global_store_dwordx4 v[30:31], v[6:9], off
	;; [unrolled: 1-line block ×3, first 2 shown]
	s_andn2_b64 exec, exec, s[44:45]
	s_cbranch_execz .LBB14_13
.LBB14_3:                               ; =>This Loop Header: Depth=1
                                        ;     Child Loop BB14_6 Depth 2
	s_andn2_b64 vcc, exec, s[26:27]
	s_cbranch_vccnz .LBB14_10
; %bb.4:                                ;   in Loop: Header=BB14_3 Depth=1
	s_andn2_b64 vcc, exec, s[30:31]
	v_mov_b32_e32 v2, 0
	v_mov_b32_e32 v4, 0
	;; [unrolled: 1-line block ×3, first 2 shown]
	s_cbranch_vccnz .LBB14_9
; %bb.5:                                ;   in Loop: Header=BB14_3 Depth=1
	v_mov_b32_e32 v0, 0
	s_mov_b32 s22, s9
	s_mov_b64 s[50:51], s[0:1]
	v_mov_b32_e32 v3, v10
	v_mov_b32_e32 v4, v0
	v_mov_b32_e32 v2, v0
.LBB14_6:                               ;   Parent Loop BB14_3 Depth=1
                                        ; =>  This Inner Loop Header: Depth=2
	s_mov_b64 s[60:61], s[50:51]
	s_load_dwordx4 s[52:55], s[60:61], 0x18
	s_load_dwordx2 s[62:63], s[60:61], 0x28
	s_load_dwordx2 s[64:65], s[60:61], 0xe8
	s_load_dwordx4 s[56:59], s[60:61], 0xd8
	s_add_u32 s50, s60, 24
	s_waitcnt lgkmcnt(0)
	v_mul_hi_u32 v5, s53, v3
	v_add_u32_e32 v5, v3, v5
	v_lshrrev_b32_e32 v5, s54, v5
	v_mul_lo_u32 v6, v5, s52
	v_mul_hi_u32 v7, s62, v5
	v_sub_u32_e32 v3, v3, v6
	v_add_u32_e32 v6, v5, v7
	v_mul_lo_u32 v7, v3, s56
	v_mul_lo_u32 v8, v3, s57
	;; [unrolled: 1-line block ×3, first 2 shown]
	v_lshrrev_b32_e32 v3, s63, v6
	v_mul_lo_u32 v6, v3, s55
	v_sub_u32_e32 v5, v5, v6
	s_addc_u32 s51, s61, 0
	s_add_i32 s22, s22, -2
	v_mul_lo_u32 v6, v5, s59
	v_mul_lo_u32 v12, v5, s64
	;; [unrolled: 1-line block ×3, first 2 shown]
	s_cmp_lg_u32 s22, 0
	v_add3_u32 v0, v7, v0, v6
	v_add3_u32 v2, v9, v2, v5
	;; [unrolled: 1-line block ×3, first 2 shown]
	s_cbranch_scc1 .LBB14_6
; %bb.7:                                ;   in Loop: Header=BB14_3 Depth=1
	s_andn2_b64 vcc, exec, s[40:41]
	s_cbranch_vccnz .LBB14_9
; %bb.8:                                ;   in Loop: Header=BB14_3 Depth=1
	s_load_dwordx2 s[52:53], s[50:51], 0x18
	s_load_dword s22, s[50:51], 0x20
	s_load_dword s33, s[50:51], 0xe0
	s_nop 0
	s_load_dwordx2 s[50:51], s[50:51], 0xd8
	s_waitcnt lgkmcnt(0)
	v_mul_hi_u32 v5, s53, v3
	v_add_u32_e32 v5, v3, v5
	v_lshrrev_b32_e32 v5, s22, v5
	v_mul_lo_u32 v5, v5, s52
	v_sub_u32_e32 v3, v3, v5
	v_mad_u64_u32 v[6:7], s[52:53], v3, s50, v[0:1]
	v_mad_u64_u32 v[4:5], s[50:51], v3, s51, v[4:5]
	;; [unrolled: 1-line block ×3, first 2 shown]
	v_mov_b32_e32 v0, v6
.LBB14_9:                               ;   in Loop: Header=BB14_3 Depth=1
	s_cbranch_execnz .LBB14_2
	s_branch .LBB14_11
.LBB14_10:                              ;   in Loop: Header=BB14_3 Depth=1
                                        ; implicit-def: $vgpr2
                                        ; implicit-def: $vgpr4
.LBB14_11:                              ;   in Loop: Header=BB14_3 Depth=1
	v_mul_hi_u32 v0, v10, s6
	v_add_u32_e32 v0, v0, v10
	v_lshrrev_b32_e32 v3, s7, v0
	v_mul_lo_u32 v0, v3, s5
	v_sub_u32_e32 v4, v10, v0
	v_mul_lo_u32 v0, v4, s20
	v_mul_lo_u32 v2, v4, s21
	s_andn2_b64 vcc, exec, s[36:37]
	v_mul_lo_u32 v4, v4, s11
	s_cbranch_vccnz .LBB14_2
; %bb.12:                               ;   in Loop: Header=BB14_3 Depth=1
	v_mul_hi_u32 v5, s4, v3
	v_add_u32_e32 v5, v3, v5
	v_lshrrev_b32_e32 v5, s10, v5
	v_mul_lo_u32 v5, v5, s8
	v_sub_u32_e32 v3, v3, v5
	v_mad_u64_u32 v[6:7], s[50:51], v3, s23, v[0:1]
	v_mad_u64_u32 v[4:5], s[50:51], v3, s34, v[4:5]
	;; [unrolled: 1-line block ×3, first 2 shown]
	v_mov_b32_e32 v0, v6
	s_branch .LBB14_2
.LBB14_13:
	s_endpgm
	.section	.rodata,"a",@progbits
	.p2align	6, 0x0
	.amdhsa_kernel _ZN2at6native12cross_kernelIN3c107complexIdEE16OffsetCalculatorILi3EjLb0EElEEviPT_PKS7_SA_T0_T1_SC_SC_
		.amdhsa_group_segment_fixed_size 0
		.amdhsa_private_segment_fixed_size 0
		.amdhsa_kernarg_size 704
		.amdhsa_user_sgpr_count 2
		.amdhsa_user_sgpr_dispatch_ptr 0
		.amdhsa_user_sgpr_queue_ptr 0
		.amdhsa_user_sgpr_kernarg_segment_ptr 1
		.amdhsa_user_sgpr_dispatch_id 0
		.amdhsa_user_sgpr_kernarg_preload_length 0
		.amdhsa_user_sgpr_kernarg_preload_offset 0
		.amdhsa_user_sgpr_private_segment_size 0
		.amdhsa_uses_dynamic_stack 0
		.amdhsa_enable_private_segment 0
		.amdhsa_system_sgpr_workgroup_id_x 1
		.amdhsa_system_sgpr_workgroup_id_y 0
		.amdhsa_system_sgpr_workgroup_id_z 0
		.amdhsa_system_sgpr_workgroup_info 0
		.amdhsa_system_vgpr_workitem_id 0
		.amdhsa_next_free_vgpr 52
		.amdhsa_next_free_sgpr 66
		.amdhsa_accum_offset 52
		.amdhsa_reserve_vcc 1
		.amdhsa_float_round_mode_32 0
		.amdhsa_float_round_mode_16_64 0
		.amdhsa_float_denorm_mode_32 3
		.amdhsa_float_denorm_mode_16_64 3
		.amdhsa_dx10_clamp 1
		.amdhsa_ieee_mode 1
		.amdhsa_fp16_overflow 0
		.amdhsa_tg_split 0
		.amdhsa_exception_fp_ieee_invalid_op 0
		.amdhsa_exception_fp_denorm_src 0
		.amdhsa_exception_fp_ieee_div_zero 0
		.amdhsa_exception_fp_ieee_overflow 0
		.amdhsa_exception_fp_ieee_underflow 0
		.amdhsa_exception_fp_ieee_inexact 0
		.amdhsa_exception_int_div_zero 0
	.end_amdhsa_kernel
	.section	.text._ZN2at6native12cross_kernelIN3c107complexIdEE16OffsetCalculatorILi3EjLb0EElEEviPT_PKS7_SA_T0_T1_SC_SC_,"axG",@progbits,_ZN2at6native12cross_kernelIN3c107complexIdEE16OffsetCalculatorILi3EjLb0EElEEviPT_PKS7_SA_T0_T1_SC_SC_,comdat
.Lfunc_end14:
	.size	_ZN2at6native12cross_kernelIN3c107complexIdEE16OffsetCalculatorILi3EjLb0EElEEviPT_PKS7_SA_T0_T1_SC_SC_, .Lfunc_end14-_ZN2at6native12cross_kernelIN3c107complexIdEE16OffsetCalculatorILi3EjLb0EElEEviPT_PKS7_SA_T0_T1_SC_SC_
                                        ; -- End function
	.section	.AMDGPU.csdata,"",@progbits
; Kernel info:
; codeLenInByte = 1132
; NumSgprs: 72
; NumVgprs: 52
; NumAgprs: 0
; TotalNumVgprs: 52
; ScratchSize: 0
; MemoryBound: 0
; FloatMode: 240
; IeeeMode: 1
; LDSByteSize: 0 bytes/workgroup (compile time only)
; SGPRBlocks: 8
; VGPRBlocks: 6
; NumSGPRsForWavesPerEU: 72
; NumVGPRsForWavesPerEU: 52
; AccumOffset: 52
; Occupancy: 8
; WaveLimiterHint : 1
; COMPUTE_PGM_RSRC2:SCRATCH_EN: 0
; COMPUTE_PGM_RSRC2:USER_SGPR: 2
; COMPUTE_PGM_RSRC2:TRAP_HANDLER: 0
; COMPUTE_PGM_RSRC2:TGID_X_EN: 1
; COMPUTE_PGM_RSRC2:TGID_Y_EN: 0
; COMPUTE_PGM_RSRC2:TGID_Z_EN: 0
; COMPUTE_PGM_RSRC2:TIDIG_COMP_CNT: 0
; COMPUTE_PGM_RSRC3_GFX90A:ACCUM_OFFSET: 12
; COMPUTE_PGM_RSRC3_GFX90A:TG_SPLIT: 0
	.section	.text._ZN2at6native12cross_kernelIN3c107complexIdEE16OffsetCalculatorILi3EjLb0EEiEEviPT_PKS7_SA_T0_T1_SC_SC_,"axG",@progbits,_ZN2at6native12cross_kernelIN3c107complexIdEE16OffsetCalculatorILi3EjLb0EEiEEviPT_PKS7_SA_T0_T1_SC_SC_,comdat
	.protected	_ZN2at6native12cross_kernelIN3c107complexIdEE16OffsetCalculatorILi3EjLb0EEiEEviPT_PKS7_SA_T0_T1_SC_SC_ ; -- Begin function _ZN2at6native12cross_kernelIN3c107complexIdEE16OffsetCalculatorILi3EjLb0EEiEEviPT_PKS7_SA_T0_T1_SC_SC_
	.globl	_ZN2at6native12cross_kernelIN3c107complexIdEE16OffsetCalculatorILi3EjLb0EEiEEviPT_PKS7_SA_T0_T1_SC_SC_
	.p2align	8
	.type	_ZN2at6native12cross_kernelIN3c107complexIdEE16OffsetCalculatorILi3EjLb0EEiEEviPT_PKS7_SA_T0_T1_SC_SC_,@function
_ZN2at6native12cross_kernelIN3c107complexIdEE16OffsetCalculatorILi3EjLb0EEiEEviPT_PKS7_SA_T0_T1_SC_SC_: ; @_ZN2at6native12cross_kernelIN3c107complexIdEE16OffsetCalculatorILi3EjLb0EEiEEviPT_PKS7_SA_T0_T1_SC_SC_
; %bb.0:
	s_load_dword s24, s[0:1], 0x0
	s_load_dword s3, s[0:1], 0x1bc
	v_mov_b32_e32 v1, 0
	v_mov_b32_e32 v2, s2
	s_waitcnt lgkmcnt(0)
	s_ashr_i32 s25, s24, 31
	s_add_u32 s20, s0, 0x1b0
	s_addc_u32 s21, s1, 0
	s_and_b32 s28, s3, 0xffff
	v_mad_u64_u32 v[10:11], s[2:3], s28, v2, v[0:1]
	v_cmp_gt_i64_e32 vcc, s[24:25], v[10:11]
	s_and_saveexec_b64 s[2:3], vcc
	s_cbranch_execz .LBB15_13
; %bb.1:
	s_load_dwordx8 s[4:11], s[0:1], 0x20
	s_load_dwordx4 s[12:15], s[0:1], 0x8
	s_load_dwordx2 s[2:3], s[0:1], 0x18
	s_load_dwordx4 s[16:19], s[0:1], 0x1a4
	s_waitcnt lgkmcnt(0)
	s_load_dword s19, s[20:21], 0x0
	s_add_i32 s11, s4, -1
	s_cmp_gt_u32 s11, 1
	s_cselect_b64 s[26:27], -1, 0
	s_cmp_lg_u32 s4, 0
	s_cselect_b64 s[30:31], -1, 0
	s_min_u32 s33, s11, 15
	s_cmp_gt_u32 s4, 1
	s_cselect_b64 s[36:37], -1, 0
	s_mov_b32 s4, s9
	s_lshl_b32 s40, s18, 1
	s_add_i32 s9, s33, 1
	s_ashr_i32 s39, s17, 31
	s_mov_b32 s38, s17
	s_ashr_i32 s41, s40, 31
	s_ashr_i32 s17, s16, 31
	s_and_b32 s9, s9, 30
	s_bitcmp0_b32 s33, 0
                                        ; kill: killed $sgpr20 killed $sgpr21
	s_load_dwordx4 s[20:23], s[0:1], 0xe4
	s_load_dwordx2 s[34:35], s[0:1], 0xf4
	s_waitcnt lgkmcnt(0)
	s_mul_i32 s28, s19, s28
	s_cselect_b64 s[42:43], -1, 0
	s_ashr_i32 s19, s18, 31
	s_lshl_b64 s[44:45], s[38:39], 4
	s_lshl_b64 s[46:47], s[18:19], 4
	s_sub_u32 s46, 0, s46
	s_subb_u32 s47, 0, s47
	s_lshl_b64 s[48:49], s[16:17], 4
	s_add_u32 s0, s0, 12
	s_mov_b32 s29, 0
	s_mov_b32 s11, s21
	;; [unrolled: 1-line block ×3, first 2 shown]
	s_mov_b64 s[18:19], 0
	s_addc_u32 s1, s1, 0
	s_branch .LBB15_3
.LBB15_2:                               ;   in Loop: Header=BB15_3 Depth=1
	v_mov_b32_e32 v3, v1
	v_mov_b32_e32 v5, v1
	v_lshl_add_u64 v[22:23], v[2:3], 4, s[2:3]
	v_lshl_add_u64 v[20:21], v[4:5], 4, s[14:15]
	;; [unrolled: 1-line block ×5, first 2 shown]
	global_load_dwordx4 v[2:5], v[26:27], off
	global_load_dwordx4 v[6:9], v[24:25], off
	;; [unrolled: 1-line block ×4, first 2 shown]
	v_lshl_add_u64 v[28:29], v[24:25], 0, s[44:45]
	global_load_dwordx4 v[20:23], v[30:31], off
	global_load_dwordx4 v[24:27], v[28:29], off
	v_lshl_add_u64 v[10:11], v[10:11], 0, s[28:29]
	v_lshl_add_u64 v[28:29], v[0:1], 4, s[12:13]
	v_cmp_le_i64_e32 vcc, s[24:25], v[10:11]
	v_lshl_add_u64 v[30:31], s[16:17], 4, v[28:29]
	s_or_b64 s[18:19], vcc, s[18:19]
	v_lshl_add_u64 v[32:33], v[30:31], 0, s[48:49]
	s_waitcnt vmcnt(4)
	v_mul_f64 v[34:35], v[4:5], v[8:9]
	v_mul_f64 v[36:37], v[2:3], v[8:9]
	s_waitcnt vmcnt(3)
	v_mul_f64 v[38:39], v[4:5], v[14:15]
	v_mul_f64 v[40:41], v[2:3], v[14:15]
	;; [unrolled: 3-line block ×3, first 2 shown]
	v_mul_f64 v[42:43], v[8:9], v[18:19]
	v_mul_f64 v[44:45], v[6:7], v[18:19]
	v_fma_f64 v[34:35], v[2:3], v[6:7], -v[34:35]
	v_fmac_f64_e32 v[36:37], v[4:5], v[6:7]
	v_mul_f64 v[50:51], v[26:27], v[18:19]
	v_mul_f64 v[18:19], v[24:25], v[18:19]
	v_fma_f64 v[38:39], v[2:3], v[12:13], -v[38:39]
	v_fmac_f64_e32 v[40:41], v[4:5], v[12:13]
	;; [unrolled: 4-line block ×3, first 2 shown]
	v_fma_f64 v[42:43], v[6:7], v[16:17], -v[42:43]
	v_fmac_f64_e32 v[44:45], v[8:9], v[16:17]
	v_fma_f64 v[6:7], v[24:25], v[16:17], -v[50:51]
	v_fmac_f64_e32 v[18:19], v[26:27], v[16:17]
	;; [unrolled: 2-line block ×3, first 2 shown]
	v_add_f64 v[2:3], v[34:35], -v[4:5]
	v_add_f64 v[4:5], v[36:37], -v[48:49]
	;; [unrolled: 1-line block ×6, first 2 shown]
	global_store_dwordx4 v[28:29], v[2:5], off
	global_store_dwordx4 v[30:31], v[6:9], off
	global_store_dwordx4 v[32:33], v[12:15], off
	s_andn2_b64 exec, exec, s[18:19]
	s_cbranch_execz .LBB15_13
.LBB15_3:                               ; =>This Loop Header: Depth=1
                                        ;     Child Loop BB15_6 Depth 2
	s_andn2_b64 vcc, exec, s[26:27]
	s_cbranch_vccnz .LBB15_10
; %bb.4:                                ;   in Loop: Header=BB15_3 Depth=1
	s_andn2_b64 vcc, exec, s[30:31]
	v_mov_b32_e32 v2, 0
	v_mov_b32_e32 v4, 0
	;; [unrolled: 1-line block ×3, first 2 shown]
	s_cbranch_vccnz .LBB15_9
; %bb.5:                                ;   in Loop: Header=BB15_3 Depth=1
	v_mov_b32_e32 v0, 0
	s_mov_b32 s22, s9
	s_mov_b64 s[50:51], s[0:1]
	v_mov_b32_e32 v3, v10
	v_mov_b32_e32 v4, v0
	;; [unrolled: 1-line block ×3, first 2 shown]
.LBB15_6:                               ;   Parent Loop BB15_3 Depth=1
                                        ; =>  This Inner Loop Header: Depth=2
	s_mov_b64 s[60:61], s[50:51]
	s_load_dwordx4 s[52:55], s[60:61], 0x18
	s_load_dwordx2 s[62:63], s[60:61], 0x28
	s_load_dwordx2 s[64:65], s[60:61], 0xe8
	s_load_dwordx4 s[56:59], s[60:61], 0xd8
	s_add_u32 s50, s60, 24
	s_waitcnt lgkmcnt(0)
	v_mul_hi_u32 v5, s53, v3
	v_add_u32_e32 v5, v3, v5
	v_lshrrev_b32_e32 v5, s54, v5
	v_mul_lo_u32 v6, v5, s52
	v_mul_hi_u32 v7, s62, v5
	v_sub_u32_e32 v3, v3, v6
	v_add_u32_e32 v6, v5, v7
	v_mul_lo_u32 v7, v3, s56
	v_mul_lo_u32 v8, v3, s57
	;; [unrolled: 1-line block ×3, first 2 shown]
	v_lshrrev_b32_e32 v3, s63, v6
	v_mul_lo_u32 v6, v3, s55
	v_sub_u32_e32 v5, v5, v6
	s_addc_u32 s51, s61, 0
	s_add_i32 s22, s22, -2
	v_mul_lo_u32 v6, v5, s59
	v_mul_lo_u32 v12, v5, s64
	;; [unrolled: 1-line block ×3, first 2 shown]
	s_cmp_lg_u32 s22, 0
	v_add3_u32 v0, v7, v0, v6
	v_add3_u32 v2, v9, v2, v5
	;; [unrolled: 1-line block ×3, first 2 shown]
	s_cbranch_scc1 .LBB15_6
; %bb.7:                                ;   in Loop: Header=BB15_3 Depth=1
	s_andn2_b64 vcc, exec, s[42:43]
	s_cbranch_vccnz .LBB15_9
; %bb.8:                                ;   in Loop: Header=BB15_3 Depth=1
	s_load_dwordx2 s[52:53], s[50:51], 0x18
	s_load_dword s22, s[50:51], 0x20
	s_load_dword s33, s[50:51], 0xe0
	s_nop 0
	s_load_dwordx2 s[50:51], s[50:51], 0xd8
	s_waitcnt lgkmcnt(0)
	v_mul_hi_u32 v5, s53, v3
	v_add_u32_e32 v5, v3, v5
	v_lshrrev_b32_e32 v5, s22, v5
	v_mul_lo_u32 v5, v5, s52
	v_sub_u32_e32 v3, v3, v5
	v_mad_u64_u32 v[6:7], s[52:53], v3, s50, v[0:1]
	v_mad_u64_u32 v[4:5], s[50:51], v3, s51, v[4:5]
	;; [unrolled: 1-line block ×3, first 2 shown]
	v_mov_b32_e32 v0, v6
.LBB15_9:                               ;   in Loop: Header=BB15_3 Depth=1
	s_cbranch_execnz .LBB15_2
	s_branch .LBB15_11
.LBB15_10:                              ;   in Loop: Header=BB15_3 Depth=1
                                        ; implicit-def: $vgpr2
                                        ; implicit-def: $vgpr4
.LBB15_11:                              ;   in Loop: Header=BB15_3 Depth=1
	v_mul_hi_u32 v0, v10, s6
	v_add_u32_e32 v0, v0, v10
	v_lshrrev_b32_e32 v3, s7, v0
	v_mul_lo_u32 v0, v3, s5
	v_sub_u32_e32 v4, v10, v0
	v_mul_lo_u32 v0, v4, s20
	v_mul_lo_u32 v2, v4, s21
	s_andn2_b64 vcc, exec, s[36:37]
	v_mul_lo_u32 v4, v4, s11
	s_cbranch_vccnz .LBB15_2
; %bb.12:                               ;   in Loop: Header=BB15_3 Depth=1
	v_mul_hi_u32 v5, s4, v3
	v_add_u32_e32 v5, v3, v5
	v_lshrrev_b32_e32 v5, s10, v5
	v_mul_lo_u32 v5, v5, s8
	v_sub_u32_e32 v3, v3, v5
	v_mad_u64_u32 v[6:7], s[50:51], v3, s23, v[0:1]
	v_mad_u64_u32 v[4:5], s[50:51], v3, s34, v[4:5]
	;; [unrolled: 1-line block ×3, first 2 shown]
	v_mov_b32_e32 v0, v6
	s_branch .LBB15_2
.LBB15_13:
	s_endpgm
	.section	.rodata,"a",@progbits
	.p2align	6, 0x0
	.amdhsa_kernel _ZN2at6native12cross_kernelIN3c107complexIdEE16OffsetCalculatorILi3EjLb0EEiEEviPT_PKS7_SA_T0_T1_SC_SC_
		.amdhsa_group_segment_fixed_size 0
		.amdhsa_private_segment_fixed_size 0
		.amdhsa_kernarg_size 688
		.amdhsa_user_sgpr_count 2
		.amdhsa_user_sgpr_dispatch_ptr 0
		.amdhsa_user_sgpr_queue_ptr 0
		.amdhsa_user_sgpr_kernarg_segment_ptr 1
		.amdhsa_user_sgpr_dispatch_id 0
		.amdhsa_user_sgpr_kernarg_preload_length 0
		.amdhsa_user_sgpr_kernarg_preload_offset 0
		.amdhsa_user_sgpr_private_segment_size 0
		.amdhsa_uses_dynamic_stack 0
		.amdhsa_enable_private_segment 0
		.amdhsa_system_sgpr_workgroup_id_x 1
		.amdhsa_system_sgpr_workgroup_id_y 0
		.amdhsa_system_sgpr_workgroup_id_z 0
		.amdhsa_system_sgpr_workgroup_info 0
		.amdhsa_system_vgpr_workitem_id 0
		.amdhsa_next_free_vgpr 52
		.amdhsa_next_free_sgpr 66
		.amdhsa_accum_offset 52
		.amdhsa_reserve_vcc 1
		.amdhsa_float_round_mode_32 0
		.amdhsa_float_round_mode_16_64 0
		.amdhsa_float_denorm_mode_32 3
		.amdhsa_float_denorm_mode_16_64 3
		.amdhsa_dx10_clamp 1
		.amdhsa_ieee_mode 1
		.amdhsa_fp16_overflow 0
		.amdhsa_tg_split 0
		.amdhsa_exception_fp_ieee_invalid_op 0
		.amdhsa_exception_fp_denorm_src 0
		.amdhsa_exception_fp_ieee_div_zero 0
		.amdhsa_exception_fp_ieee_overflow 0
		.amdhsa_exception_fp_ieee_underflow 0
		.amdhsa_exception_fp_ieee_inexact 0
		.amdhsa_exception_int_div_zero 0
	.end_amdhsa_kernel
	.section	.text._ZN2at6native12cross_kernelIN3c107complexIdEE16OffsetCalculatorILi3EjLb0EEiEEviPT_PKS7_SA_T0_T1_SC_SC_,"axG",@progbits,_ZN2at6native12cross_kernelIN3c107complexIdEE16OffsetCalculatorILi3EjLb0EEiEEviPT_PKS7_SA_T0_T1_SC_SC_,comdat
.Lfunc_end15:
	.size	_ZN2at6native12cross_kernelIN3c107complexIdEE16OffsetCalculatorILi3EjLb0EEiEEviPT_PKS7_SA_T0_T1_SC_SC_, .Lfunc_end15-_ZN2at6native12cross_kernelIN3c107complexIdEE16OffsetCalculatorILi3EjLb0EEiEEviPT_PKS7_SA_T0_T1_SC_SC_
                                        ; -- End function
	.section	.AMDGPU.csdata,"",@progbits
; Kernel info:
; codeLenInByte = 1144
; NumSgprs: 72
; NumVgprs: 52
; NumAgprs: 0
; TotalNumVgprs: 52
; ScratchSize: 0
; MemoryBound: 0
; FloatMode: 240
; IeeeMode: 1
; LDSByteSize: 0 bytes/workgroup (compile time only)
; SGPRBlocks: 8
; VGPRBlocks: 6
; NumSGPRsForWavesPerEU: 72
; NumVGPRsForWavesPerEU: 52
; AccumOffset: 52
; Occupancy: 8
; WaveLimiterHint : 1
; COMPUTE_PGM_RSRC2:SCRATCH_EN: 0
; COMPUTE_PGM_RSRC2:USER_SGPR: 2
; COMPUTE_PGM_RSRC2:TRAP_HANDLER: 0
; COMPUTE_PGM_RSRC2:TGID_X_EN: 1
; COMPUTE_PGM_RSRC2:TGID_Y_EN: 0
; COMPUTE_PGM_RSRC2:TGID_Z_EN: 0
; COMPUTE_PGM_RSRC2:TIDIG_COMP_CNT: 0
; COMPUTE_PGM_RSRC3_GFX90A:ACCUM_OFFSET: 12
; COMPUTE_PGM_RSRC3_GFX90A:TG_SPLIT: 0
	.section	.text._ZN2at6native12cross_kernelIN3c107complexIfEE16OffsetCalculatorILi3EjLb0EElEEviPT_PKS7_SA_T0_T1_SC_SC_,"axG",@progbits,_ZN2at6native12cross_kernelIN3c107complexIfEE16OffsetCalculatorILi3EjLb0EElEEviPT_PKS7_SA_T0_T1_SC_SC_,comdat
	.protected	_ZN2at6native12cross_kernelIN3c107complexIfEE16OffsetCalculatorILi3EjLb0EElEEviPT_PKS7_SA_T0_T1_SC_SC_ ; -- Begin function _ZN2at6native12cross_kernelIN3c107complexIfEE16OffsetCalculatorILi3EjLb0EElEEviPT_PKS7_SA_T0_T1_SC_SC_
	.globl	_ZN2at6native12cross_kernelIN3c107complexIfEE16OffsetCalculatorILi3EjLb0EElEEviPT_PKS7_SA_T0_T1_SC_SC_
	.p2align	8
	.type	_ZN2at6native12cross_kernelIN3c107complexIfEE16OffsetCalculatorILi3EjLb0EElEEviPT_PKS7_SA_T0_T1_SC_SC_,@function
_ZN2at6native12cross_kernelIN3c107complexIfEE16OffsetCalculatorILi3EjLb0EElEEviPT_PKS7_SA_T0_T1_SC_SC_: ; @_ZN2at6native12cross_kernelIN3c107complexIfEE16OffsetCalculatorILi3EjLb0EElEEviPT_PKS7_SA_T0_T1_SC_SC_
; %bb.0:
	s_load_dword s24, s[0:1], 0x0
	s_load_dword s3, s[0:1], 0x1cc
	v_mov_b32_e32 v1, 0
	v_mov_b32_e32 v2, s2
	s_waitcnt lgkmcnt(0)
	s_ashr_i32 s25, s24, 31
	s_add_u32 s20, s0, 0x1c0
	s_addc_u32 s21, s1, 0
	s_and_b32 s28, s3, 0xffff
	v_mad_u64_u32 v[2:3], s[2:3], s28, v2, v[0:1]
	v_cmp_gt_i64_e32 vcc, s[24:25], v[2:3]
	s_and_saveexec_b64 s[2:3], vcc
	s_cbranch_execz .LBB16_13
; %bb.1:
	s_load_dwordx8 s[4:11], s[0:1], 0x20
	s_load_dwordx4 s[12:15], s[0:1], 0x8
	s_load_dwordx2 s[2:3], s[0:1], 0x18
	s_load_dwordx2 s[44:45], s[0:1], 0x1b8
	s_load_dwordx4 s[16:19], s[0:1], 0x1a8
	s_load_dword s33, s[20:21], 0x0
	s_waitcnt lgkmcnt(0)
	s_add_i32 s11, s4, -1
	s_cmp_gt_u32 s11, 1
	s_cselect_b64 s[26:27], -1, 0
	s_cmp_lg_u32 s4, 0
	s_cselect_b64 s[30:31], -1, 0
	s_min_u32 s40, s11, 15
	s_cmp_gt_u32 s4, 1
	s_cselect_b64 s[36:37], -1, 0
	s_mov_b32 s4, s9
	s_add_i32 s9, s40, 1
	s_lshl_b64 s[38:39], s[44:45], 4
	s_and_b32 s9, s9, 30
	s_load_dwordx4 s[20:23], s[0:1], 0xe4
	s_load_dwordx2 s[34:35], s[0:1], 0xf4
	s_bitcmp0_b32 s40, 0
	s_cselect_b64 s[40:41], -1, 0
	s_lshl_b64 s[42:43], s[18:19], 3
	s_lshl_b64 s[46:47], s[44:45], 3
	s_sub_u32 s46, 0, s46
	s_subb_u32 s47, 0, s47
	s_lshl_b64 s[48:49], s[16:17], 3
	s_add_u32 s0, s0, 12
	s_mov_b32 s29, 0
	s_waitcnt lgkmcnt(0)
	s_mov_b32 s11, s21
	s_mov_b32 s21, s22
	s_mul_i32 s28, s33, s28
	s_mov_b64 s[44:45], 0
	s_addc_u32 s1, s1, 0
	s_branch .LBB16_3
.LBB16_2:                               ;   in Loop: Header=BB16_3 Depth=1
	v_mov_b32_e32 v7, v1
	v_lshl_add_u64 v[6:7], v[6:7], 3, s[14:15]
	v_mov_b32_e32 v5, v1
	v_lshl_add_u64 v[4:5], v[4:5], 3, s[2:3]
	v_lshl_add_u64 v[8:9], s[18:19], 3, v[6:7]
	;; [unrolled: 1-line block ×3, first 2 shown]
	global_load_dwordx2 v[12:13], v[8:9], off
	global_load_dwordx2 v[14:15], v[10:11], off
	;; [unrolled: 1-line block ×4, first 2 shown]
	v_lshl_add_u64 v[4:5], v[8:9], 0, s[42:43]
	v_lshl_add_u64 v[6:7], v[10:11], 0, s[46:47]
	global_load_dwordx2 v[8:9], v[4:5], off
	global_load_dwordx2 v[10:11], v[6:7], off
	v_lshl_add_u64 v[4:5], v[0:1], 3, s[12:13]
	v_lshl_add_u64 v[2:3], v[2:3], 0, s[28:29]
	v_cmp_le_i64_e32 vcc, s[24:25], v[2:3]
	v_lshl_add_u64 v[6:7], s[16:17], 3, v[4:5]
	s_or_b64 s[44:45], vcc, s[44:45]
	v_lshl_add_u64 v[20:21], v[6:7], 0, s[48:49]
	s_waitcnt vmcnt(4)
	v_mul_f32_e32 v0, v15, v13
	v_mul_f32_e32 v22, v14, v13
	s_waitcnt vmcnt(3)
	v_mul_f32_e32 v24, v14, v17
	s_waitcnt vmcnt(2)
	v_mul_f32_e32 v26, v19, v12
	v_mul_f32_e32 v23, v15, v17
	s_waitcnt vmcnt(0)
	v_mul_f32_e32 v27, v11, v9
	v_mul_f32_e32 v28, v10, v9
	v_mul_f32_e32 v25, v19, v13
	v_fma_f32 v0, v14, v12, -v0
	v_fmac_f32_e32 v22, v15, v12
	v_mul_f32_e32 v29, v19, v9
	v_mul_f32_e32 v19, v19, v8
	v_fmac_f32_e32 v24, v15, v16
	v_mul_f32_e32 v15, v11, v17
	v_mul_f32_e32 v17, v10, v17
	v_fmac_f32_e32 v26, v18, v13
	v_fma_f32 v13, v10, v8, -v27
	v_fmac_f32_e32 v28, v11, v8
	v_fma_f32 v14, v14, v16, -v23
	v_fma_f32 v12, v18, v12, -v25
	;; [unrolled: 1-line block ×3, first 2 shown]
	v_fmac_f32_e32 v19, v18, v9
	v_fma_f32 v15, v10, v16, -v15
	v_fmac_f32_e32 v17, v11, v16
	v_sub_f32_e32 v8, v0, v13
	v_sub_f32_e32 v9, v22, v28
	;; [unrolled: 1-line block ×6, first 2 shown]
	global_store_dwordx2 v[4:5], v[8:9], off
	global_store_dwordx2 v[6:7], v[10:11], off
	;; [unrolled: 1-line block ×3, first 2 shown]
	s_andn2_b64 exec, exec, s[44:45]
	s_cbranch_execz .LBB16_13
.LBB16_3:                               ; =>This Loop Header: Depth=1
                                        ;     Child Loop BB16_6 Depth 2
	s_andn2_b64 vcc, exec, s[26:27]
	s_cbranch_vccnz .LBB16_10
; %bb.4:                                ;   in Loop: Header=BB16_3 Depth=1
	s_andn2_b64 vcc, exec, s[30:31]
	v_mov_b32_e32 v4, 0
	v_mov_b32_e32 v6, 0
	;; [unrolled: 1-line block ×3, first 2 shown]
	s_cbranch_vccnz .LBB16_9
; %bb.5:                                ;   in Loop: Header=BB16_3 Depth=1
	v_mov_b32_e32 v0, 0
	s_mov_b32 s22, s9
	s_mov_b64 s[50:51], s[0:1]
	v_mov_b32_e32 v5, v2
	v_mov_b32_e32 v6, v0
	;; [unrolled: 1-line block ×3, first 2 shown]
.LBB16_6:                               ;   Parent Loop BB16_3 Depth=1
                                        ; =>  This Inner Loop Header: Depth=2
	s_mov_b64 s[60:61], s[50:51]
	s_load_dwordx4 s[52:55], s[60:61], 0x18
	s_load_dwordx2 s[62:63], s[60:61], 0x28
	s_load_dwordx2 s[64:65], s[60:61], 0xe8
	s_load_dwordx4 s[56:59], s[60:61], 0xd8
	s_add_u32 s50, s60, 24
	s_waitcnt lgkmcnt(0)
	v_mul_hi_u32 v7, s53, v5
	v_add_u32_e32 v7, v5, v7
	v_lshrrev_b32_e32 v7, s54, v7
	v_mul_lo_u32 v8, v7, s52
	v_mul_hi_u32 v9, s62, v7
	v_sub_u32_e32 v5, v5, v8
	v_add_u32_e32 v8, v7, v9
	v_mul_lo_u32 v9, v5, s56
	v_mul_lo_u32 v10, v5, s57
	;; [unrolled: 1-line block ×3, first 2 shown]
	v_lshrrev_b32_e32 v5, s63, v8
	v_mul_lo_u32 v8, v5, s55
	v_sub_u32_e32 v7, v7, v8
	s_addc_u32 s51, s61, 0
	s_add_i32 s22, s22, -2
	v_mul_lo_u32 v8, v7, s59
	v_mul_lo_u32 v12, v7, s64
	;; [unrolled: 1-line block ×3, first 2 shown]
	s_cmp_lg_u32 s22, 0
	v_add3_u32 v0, v9, v0, v8
	v_add3_u32 v4, v11, v4, v7
	;; [unrolled: 1-line block ×3, first 2 shown]
	s_cbranch_scc1 .LBB16_6
; %bb.7:                                ;   in Loop: Header=BB16_3 Depth=1
	s_andn2_b64 vcc, exec, s[40:41]
	s_cbranch_vccnz .LBB16_9
; %bb.8:                                ;   in Loop: Header=BB16_3 Depth=1
	s_load_dwordx2 s[52:53], s[50:51], 0x18
	s_load_dword s22, s[50:51], 0x20
	s_load_dword s33, s[50:51], 0xe0
	s_nop 0
	s_load_dwordx2 s[50:51], s[50:51], 0xd8
	s_waitcnt lgkmcnt(0)
	v_mul_hi_u32 v7, s53, v5
	v_add_u32_e32 v7, v5, v7
	v_lshrrev_b32_e32 v7, s22, v7
	v_mul_lo_u32 v7, v7, s52
	v_sub_u32_e32 v5, v5, v7
	v_mad_u64_u32 v[8:9], s[52:53], v5, s50, v[0:1]
	v_mad_u64_u32 v[6:7], s[50:51], v5, s51, v[6:7]
	v_mad_u64_u32 v[4:5], s[50:51], v5, s33, v[4:5]
	v_mov_b32_e32 v0, v8
.LBB16_9:                               ;   in Loop: Header=BB16_3 Depth=1
	s_cbranch_execnz .LBB16_2
	s_branch .LBB16_11
.LBB16_10:                              ;   in Loop: Header=BB16_3 Depth=1
                                        ; implicit-def: $vgpr4
                                        ; implicit-def: $vgpr6
.LBB16_11:                              ;   in Loop: Header=BB16_3 Depth=1
	v_mul_hi_u32 v0, v2, s6
	v_add_u32_e32 v0, v0, v2
	v_lshrrev_b32_e32 v5, s7, v0
	v_mul_lo_u32 v0, v5, s5
	v_sub_u32_e32 v6, v2, v0
	v_mul_lo_u32 v0, v6, s20
	v_mul_lo_u32 v4, v6, s21
	s_andn2_b64 vcc, exec, s[36:37]
	v_mul_lo_u32 v6, v6, s11
	s_cbranch_vccnz .LBB16_2
; %bb.12:                               ;   in Loop: Header=BB16_3 Depth=1
	v_mul_hi_u32 v7, s4, v5
	v_add_u32_e32 v7, v5, v7
	v_lshrrev_b32_e32 v7, s10, v7
	v_mul_lo_u32 v7, v7, s8
	v_sub_u32_e32 v5, v5, v7
	v_mad_u64_u32 v[8:9], s[50:51], v5, s23, v[0:1]
	v_mad_u64_u32 v[6:7], s[50:51], v5, s34, v[6:7]
	;; [unrolled: 1-line block ×3, first 2 shown]
	v_mov_b32_e32 v0, v8
	s_branch .LBB16_2
.LBB16_13:
	s_endpgm
	.section	.rodata,"a",@progbits
	.p2align	6, 0x0
	.amdhsa_kernel _ZN2at6native12cross_kernelIN3c107complexIfEE16OffsetCalculatorILi3EjLb0EElEEviPT_PKS7_SA_T0_T1_SC_SC_
		.amdhsa_group_segment_fixed_size 0
		.amdhsa_private_segment_fixed_size 0
		.amdhsa_kernarg_size 704
		.amdhsa_user_sgpr_count 2
		.amdhsa_user_sgpr_dispatch_ptr 0
		.amdhsa_user_sgpr_queue_ptr 0
		.amdhsa_user_sgpr_kernarg_segment_ptr 1
		.amdhsa_user_sgpr_dispatch_id 0
		.amdhsa_user_sgpr_kernarg_preload_length 0
		.amdhsa_user_sgpr_kernarg_preload_offset 0
		.amdhsa_user_sgpr_private_segment_size 0
		.amdhsa_uses_dynamic_stack 0
		.amdhsa_enable_private_segment 0
		.amdhsa_system_sgpr_workgroup_id_x 1
		.amdhsa_system_sgpr_workgroup_id_y 0
		.amdhsa_system_sgpr_workgroup_id_z 0
		.amdhsa_system_sgpr_workgroup_info 0
		.amdhsa_system_vgpr_workitem_id 0
		.amdhsa_next_free_vgpr 30
		.amdhsa_next_free_sgpr 66
		.amdhsa_accum_offset 32
		.amdhsa_reserve_vcc 1
		.amdhsa_float_round_mode_32 0
		.amdhsa_float_round_mode_16_64 0
		.amdhsa_float_denorm_mode_32 3
		.amdhsa_float_denorm_mode_16_64 3
		.amdhsa_dx10_clamp 1
		.amdhsa_ieee_mode 1
		.amdhsa_fp16_overflow 0
		.amdhsa_tg_split 0
		.amdhsa_exception_fp_ieee_invalid_op 0
		.amdhsa_exception_fp_denorm_src 0
		.amdhsa_exception_fp_ieee_div_zero 0
		.amdhsa_exception_fp_ieee_overflow 0
		.amdhsa_exception_fp_ieee_underflow 0
		.amdhsa_exception_fp_ieee_inexact 0
		.amdhsa_exception_int_div_zero 0
	.end_amdhsa_kernel
	.section	.text._ZN2at6native12cross_kernelIN3c107complexIfEE16OffsetCalculatorILi3EjLb0EElEEviPT_PKS7_SA_T0_T1_SC_SC_,"axG",@progbits,_ZN2at6native12cross_kernelIN3c107complexIfEE16OffsetCalculatorILi3EjLb0EElEEviPT_PKS7_SA_T0_T1_SC_SC_,comdat
.Lfunc_end16:
	.size	_ZN2at6native12cross_kernelIN3c107complexIfEE16OffsetCalculatorILi3EjLb0EElEEviPT_PKS7_SA_T0_T1_SC_SC_, .Lfunc_end16-_ZN2at6native12cross_kernelIN3c107complexIfEE16OffsetCalculatorILi3EjLb0EElEEviPT_PKS7_SA_T0_T1_SC_SC_
                                        ; -- End function
	.section	.AMDGPU.csdata,"",@progbits
; Kernel info:
; codeLenInByte = 1064
; NumSgprs: 72
; NumVgprs: 30
; NumAgprs: 0
; TotalNumVgprs: 30
; ScratchSize: 0
; MemoryBound: 0
; FloatMode: 240
; IeeeMode: 1
; LDSByteSize: 0 bytes/workgroup (compile time only)
; SGPRBlocks: 8
; VGPRBlocks: 3
; NumSGPRsForWavesPerEU: 72
; NumVGPRsForWavesPerEU: 30
; AccumOffset: 32
; Occupancy: 8
; WaveLimiterHint : 1
; COMPUTE_PGM_RSRC2:SCRATCH_EN: 0
; COMPUTE_PGM_RSRC2:USER_SGPR: 2
; COMPUTE_PGM_RSRC2:TRAP_HANDLER: 0
; COMPUTE_PGM_RSRC2:TGID_X_EN: 1
; COMPUTE_PGM_RSRC2:TGID_Y_EN: 0
; COMPUTE_PGM_RSRC2:TGID_Z_EN: 0
; COMPUTE_PGM_RSRC2:TIDIG_COMP_CNT: 0
; COMPUTE_PGM_RSRC3_GFX90A:ACCUM_OFFSET: 7
; COMPUTE_PGM_RSRC3_GFX90A:TG_SPLIT: 0
	.section	.text._ZN2at6native12cross_kernelIN3c107complexIfEE16OffsetCalculatorILi3EjLb0EEiEEviPT_PKS7_SA_T0_T1_SC_SC_,"axG",@progbits,_ZN2at6native12cross_kernelIN3c107complexIfEE16OffsetCalculatorILi3EjLb0EEiEEviPT_PKS7_SA_T0_T1_SC_SC_,comdat
	.protected	_ZN2at6native12cross_kernelIN3c107complexIfEE16OffsetCalculatorILi3EjLb0EEiEEviPT_PKS7_SA_T0_T1_SC_SC_ ; -- Begin function _ZN2at6native12cross_kernelIN3c107complexIfEE16OffsetCalculatorILi3EjLb0EEiEEviPT_PKS7_SA_T0_T1_SC_SC_
	.globl	_ZN2at6native12cross_kernelIN3c107complexIfEE16OffsetCalculatorILi3EjLb0EEiEEviPT_PKS7_SA_T0_T1_SC_SC_
	.p2align	8
	.type	_ZN2at6native12cross_kernelIN3c107complexIfEE16OffsetCalculatorILi3EjLb0EEiEEviPT_PKS7_SA_T0_T1_SC_SC_,@function
_ZN2at6native12cross_kernelIN3c107complexIfEE16OffsetCalculatorILi3EjLb0EEiEEviPT_PKS7_SA_T0_T1_SC_SC_: ; @_ZN2at6native12cross_kernelIN3c107complexIfEE16OffsetCalculatorILi3EjLb0EEiEEviPT_PKS7_SA_T0_T1_SC_SC_
; %bb.0:
	s_load_dword s24, s[0:1], 0x0
	s_load_dword s3, s[0:1], 0x1bc
	v_mov_b32_e32 v1, 0
	v_mov_b32_e32 v2, s2
	s_waitcnt lgkmcnt(0)
	s_ashr_i32 s25, s24, 31
	s_add_u32 s20, s0, 0x1b0
	s_addc_u32 s21, s1, 0
	s_and_b32 s28, s3, 0xffff
	v_mad_u64_u32 v[2:3], s[2:3], s28, v2, v[0:1]
	v_cmp_gt_i64_e32 vcc, s[24:25], v[2:3]
	s_and_saveexec_b64 s[2:3], vcc
	s_cbranch_execz .LBB17_13
; %bb.1:
	s_load_dwordx8 s[4:11], s[0:1], 0x20
	s_load_dwordx4 s[12:15], s[0:1], 0x8
	s_load_dwordx2 s[2:3], s[0:1], 0x18
	s_load_dwordx4 s[16:19], s[0:1], 0x1a4
	s_waitcnt lgkmcnt(0)
	s_load_dword s19, s[20:21], 0x0
	s_add_i32 s11, s4, -1
	s_cmp_gt_u32 s11, 1
	s_cselect_b64 s[26:27], -1, 0
	s_cmp_lg_u32 s4, 0
	s_cselect_b64 s[30:31], -1, 0
	s_min_u32 s33, s11, 15
	s_cmp_gt_u32 s4, 1
	s_cselect_b64 s[36:37], -1, 0
	s_mov_b32 s4, s9
	s_lshl_b32 s40, s18, 1
	s_add_i32 s9, s33, 1
	s_ashr_i32 s39, s17, 31
	s_mov_b32 s38, s17
	s_ashr_i32 s41, s40, 31
	s_ashr_i32 s17, s16, 31
	s_and_b32 s9, s9, 30
	s_bitcmp0_b32 s33, 0
                                        ; kill: killed $sgpr20 killed $sgpr21
	s_load_dwordx4 s[20:23], s[0:1], 0xe4
	s_load_dwordx2 s[34:35], s[0:1], 0xf4
	s_waitcnt lgkmcnt(0)
	s_mul_i32 s28, s19, s28
	s_cselect_b64 s[42:43], -1, 0
	s_ashr_i32 s19, s18, 31
	s_lshl_b64 s[44:45], s[38:39], 3
	s_lshl_b64 s[46:47], s[18:19], 3
	s_sub_u32 s46, 0, s46
	s_subb_u32 s47, 0, s47
	s_lshl_b64 s[48:49], s[16:17], 3
	s_add_u32 s0, s0, 12
	s_mov_b32 s29, 0
	s_mov_b32 s11, s21
	;; [unrolled: 1-line block ×3, first 2 shown]
	s_mov_b64 s[18:19], 0
	s_addc_u32 s1, s1, 0
	s_branch .LBB17_3
.LBB17_2:                               ;   in Loop: Header=BB17_3 Depth=1
	v_mov_b32_e32 v7, v1
	v_lshl_add_u64 v[6:7], v[6:7], 3, s[14:15]
	v_mov_b32_e32 v5, v1
	v_lshl_add_u64 v[4:5], v[4:5], 3, s[2:3]
	v_lshl_add_u64 v[8:9], s[38:39], 3, v[6:7]
	;; [unrolled: 1-line block ×3, first 2 shown]
	global_load_dwordx2 v[12:13], v[8:9], off
	global_load_dwordx2 v[14:15], v[10:11], off
	;; [unrolled: 1-line block ×4, first 2 shown]
	v_lshl_add_u64 v[4:5], v[8:9], 0, s[44:45]
	v_lshl_add_u64 v[6:7], v[10:11], 0, s[46:47]
	global_load_dwordx2 v[8:9], v[4:5], off
	global_load_dwordx2 v[10:11], v[6:7], off
	v_lshl_add_u64 v[4:5], v[0:1], 3, s[12:13]
	v_lshl_add_u64 v[2:3], v[2:3], 0, s[28:29]
	v_cmp_le_i64_e32 vcc, s[24:25], v[2:3]
	v_lshl_add_u64 v[6:7], s[16:17], 3, v[4:5]
	s_or_b64 s[18:19], vcc, s[18:19]
	v_lshl_add_u64 v[20:21], v[6:7], 0, s[48:49]
	s_waitcnt vmcnt(4)
	v_mul_f32_e32 v0, v15, v13
	v_mul_f32_e32 v22, v14, v13
	s_waitcnt vmcnt(3)
	v_mul_f32_e32 v24, v14, v17
	s_waitcnt vmcnt(2)
	v_mul_f32_e32 v26, v19, v12
	v_mul_f32_e32 v23, v15, v17
	s_waitcnt vmcnt(0)
	v_mul_f32_e32 v27, v11, v9
	v_mul_f32_e32 v28, v10, v9
	;; [unrolled: 1-line block ×3, first 2 shown]
	v_fma_f32 v0, v14, v12, -v0
	v_fmac_f32_e32 v22, v15, v12
	v_mul_f32_e32 v29, v19, v9
	v_mul_f32_e32 v19, v19, v8
	v_fmac_f32_e32 v24, v15, v16
	v_mul_f32_e32 v15, v11, v17
	v_mul_f32_e32 v17, v10, v17
	v_fmac_f32_e32 v26, v18, v13
	v_fma_f32 v13, v10, v8, -v27
	v_fmac_f32_e32 v28, v11, v8
	v_fma_f32 v14, v14, v16, -v23
	v_fma_f32 v12, v18, v12, -v25
	;; [unrolled: 1-line block ×3, first 2 shown]
	v_fmac_f32_e32 v19, v18, v9
	v_fma_f32 v15, v10, v16, -v15
	v_fmac_f32_e32 v17, v11, v16
	v_sub_f32_e32 v8, v0, v13
	v_sub_f32_e32 v9, v22, v28
	;; [unrolled: 1-line block ×6, first 2 shown]
	global_store_dwordx2 v[4:5], v[8:9], off
	global_store_dwordx2 v[6:7], v[10:11], off
	;; [unrolled: 1-line block ×3, first 2 shown]
	s_andn2_b64 exec, exec, s[18:19]
	s_cbranch_execz .LBB17_13
.LBB17_3:                               ; =>This Loop Header: Depth=1
                                        ;     Child Loop BB17_6 Depth 2
	s_andn2_b64 vcc, exec, s[26:27]
	s_cbranch_vccnz .LBB17_10
; %bb.4:                                ;   in Loop: Header=BB17_3 Depth=1
	s_andn2_b64 vcc, exec, s[30:31]
	v_mov_b32_e32 v4, 0
	v_mov_b32_e32 v6, 0
	;; [unrolled: 1-line block ×3, first 2 shown]
	s_cbranch_vccnz .LBB17_9
; %bb.5:                                ;   in Loop: Header=BB17_3 Depth=1
	v_mov_b32_e32 v0, 0
	s_mov_b32 s22, s9
	s_mov_b64 s[50:51], s[0:1]
	v_mov_b32_e32 v5, v2
	v_mov_b32_e32 v6, v0
	v_mov_b32_e32 v4, v0
.LBB17_6:                               ;   Parent Loop BB17_3 Depth=1
                                        ; =>  This Inner Loop Header: Depth=2
	s_mov_b64 s[60:61], s[50:51]
	s_load_dwordx4 s[52:55], s[60:61], 0x18
	s_load_dwordx2 s[62:63], s[60:61], 0x28
	s_load_dwordx2 s[64:65], s[60:61], 0xe8
	s_load_dwordx4 s[56:59], s[60:61], 0xd8
	s_add_u32 s50, s60, 24
	s_waitcnt lgkmcnt(0)
	v_mul_hi_u32 v7, s53, v5
	v_add_u32_e32 v7, v5, v7
	v_lshrrev_b32_e32 v7, s54, v7
	v_mul_lo_u32 v8, v7, s52
	v_mul_hi_u32 v9, s62, v7
	v_sub_u32_e32 v5, v5, v8
	v_add_u32_e32 v8, v7, v9
	v_mul_lo_u32 v9, v5, s56
	v_mul_lo_u32 v10, v5, s57
	;; [unrolled: 1-line block ×3, first 2 shown]
	v_lshrrev_b32_e32 v5, s63, v8
	v_mul_lo_u32 v8, v5, s55
	v_sub_u32_e32 v7, v7, v8
	s_addc_u32 s51, s61, 0
	s_add_i32 s22, s22, -2
	v_mul_lo_u32 v8, v7, s59
	v_mul_lo_u32 v12, v7, s64
	;; [unrolled: 1-line block ×3, first 2 shown]
	s_cmp_lg_u32 s22, 0
	v_add3_u32 v0, v9, v0, v8
	v_add3_u32 v4, v11, v4, v7
	;; [unrolled: 1-line block ×3, first 2 shown]
	s_cbranch_scc1 .LBB17_6
; %bb.7:                                ;   in Loop: Header=BB17_3 Depth=1
	s_andn2_b64 vcc, exec, s[42:43]
	s_cbranch_vccnz .LBB17_9
; %bb.8:                                ;   in Loop: Header=BB17_3 Depth=1
	s_load_dwordx2 s[52:53], s[50:51], 0x18
	s_load_dword s22, s[50:51], 0x20
	s_load_dword s33, s[50:51], 0xe0
	s_nop 0
	s_load_dwordx2 s[50:51], s[50:51], 0xd8
	s_waitcnt lgkmcnt(0)
	v_mul_hi_u32 v7, s53, v5
	v_add_u32_e32 v7, v5, v7
	v_lshrrev_b32_e32 v7, s22, v7
	v_mul_lo_u32 v7, v7, s52
	v_sub_u32_e32 v5, v5, v7
	v_mad_u64_u32 v[8:9], s[52:53], v5, s50, v[0:1]
	v_mad_u64_u32 v[6:7], s[50:51], v5, s51, v[6:7]
	;; [unrolled: 1-line block ×3, first 2 shown]
	v_mov_b32_e32 v0, v8
.LBB17_9:                               ;   in Loop: Header=BB17_3 Depth=1
	s_cbranch_execnz .LBB17_2
	s_branch .LBB17_11
.LBB17_10:                              ;   in Loop: Header=BB17_3 Depth=1
                                        ; implicit-def: $vgpr4
                                        ; implicit-def: $vgpr6
.LBB17_11:                              ;   in Loop: Header=BB17_3 Depth=1
	v_mul_hi_u32 v0, v2, s6
	v_add_u32_e32 v0, v0, v2
	v_lshrrev_b32_e32 v5, s7, v0
	v_mul_lo_u32 v0, v5, s5
	v_sub_u32_e32 v6, v2, v0
	v_mul_lo_u32 v0, v6, s20
	v_mul_lo_u32 v4, v6, s21
	s_andn2_b64 vcc, exec, s[36:37]
	v_mul_lo_u32 v6, v6, s11
	s_cbranch_vccnz .LBB17_2
; %bb.12:                               ;   in Loop: Header=BB17_3 Depth=1
	v_mul_hi_u32 v7, s4, v5
	v_add_u32_e32 v7, v5, v7
	v_lshrrev_b32_e32 v7, s10, v7
	v_mul_lo_u32 v7, v7, s8
	v_sub_u32_e32 v5, v5, v7
	v_mad_u64_u32 v[8:9], s[50:51], v5, s23, v[0:1]
	v_mad_u64_u32 v[6:7], s[50:51], v5, s34, v[6:7]
	v_mad_u64_u32 v[4:5], s[50:51], v5, s35, v[4:5]
	v_mov_b32_e32 v0, v8
	s_branch .LBB17_2
.LBB17_13:
	s_endpgm
	.section	.rodata,"a",@progbits
	.p2align	6, 0x0
	.amdhsa_kernel _ZN2at6native12cross_kernelIN3c107complexIfEE16OffsetCalculatorILi3EjLb0EEiEEviPT_PKS7_SA_T0_T1_SC_SC_
		.amdhsa_group_segment_fixed_size 0
		.amdhsa_private_segment_fixed_size 0
		.amdhsa_kernarg_size 688
		.amdhsa_user_sgpr_count 2
		.amdhsa_user_sgpr_dispatch_ptr 0
		.amdhsa_user_sgpr_queue_ptr 0
		.amdhsa_user_sgpr_kernarg_segment_ptr 1
		.amdhsa_user_sgpr_dispatch_id 0
		.amdhsa_user_sgpr_kernarg_preload_length 0
		.amdhsa_user_sgpr_kernarg_preload_offset 0
		.amdhsa_user_sgpr_private_segment_size 0
		.amdhsa_uses_dynamic_stack 0
		.amdhsa_enable_private_segment 0
		.amdhsa_system_sgpr_workgroup_id_x 1
		.amdhsa_system_sgpr_workgroup_id_y 0
		.amdhsa_system_sgpr_workgroup_id_z 0
		.amdhsa_system_sgpr_workgroup_info 0
		.amdhsa_system_vgpr_workitem_id 0
		.amdhsa_next_free_vgpr 30
		.amdhsa_next_free_sgpr 66
		.amdhsa_accum_offset 32
		.amdhsa_reserve_vcc 1
		.amdhsa_float_round_mode_32 0
		.amdhsa_float_round_mode_16_64 0
		.amdhsa_float_denorm_mode_32 3
		.amdhsa_float_denorm_mode_16_64 3
		.amdhsa_dx10_clamp 1
		.amdhsa_ieee_mode 1
		.amdhsa_fp16_overflow 0
		.amdhsa_tg_split 0
		.amdhsa_exception_fp_ieee_invalid_op 0
		.amdhsa_exception_fp_denorm_src 0
		.amdhsa_exception_fp_ieee_div_zero 0
		.amdhsa_exception_fp_ieee_overflow 0
		.amdhsa_exception_fp_ieee_underflow 0
		.amdhsa_exception_fp_ieee_inexact 0
		.amdhsa_exception_int_div_zero 0
	.end_amdhsa_kernel
	.section	.text._ZN2at6native12cross_kernelIN3c107complexIfEE16OffsetCalculatorILi3EjLb0EEiEEviPT_PKS7_SA_T0_T1_SC_SC_,"axG",@progbits,_ZN2at6native12cross_kernelIN3c107complexIfEE16OffsetCalculatorILi3EjLb0EEiEEviPT_PKS7_SA_T0_T1_SC_SC_,comdat
.Lfunc_end17:
	.size	_ZN2at6native12cross_kernelIN3c107complexIfEE16OffsetCalculatorILi3EjLb0EEiEEviPT_PKS7_SA_T0_T1_SC_SC_, .Lfunc_end17-_ZN2at6native12cross_kernelIN3c107complexIfEE16OffsetCalculatorILi3EjLb0EEiEEviPT_PKS7_SA_T0_T1_SC_SC_
                                        ; -- End function
	.section	.AMDGPU.csdata,"",@progbits
; Kernel info:
; codeLenInByte = 1076
; NumSgprs: 72
; NumVgprs: 30
; NumAgprs: 0
; TotalNumVgprs: 30
; ScratchSize: 0
; MemoryBound: 0
; FloatMode: 240
; IeeeMode: 1
; LDSByteSize: 0 bytes/workgroup (compile time only)
; SGPRBlocks: 8
; VGPRBlocks: 3
; NumSGPRsForWavesPerEU: 72
; NumVGPRsForWavesPerEU: 30
; AccumOffset: 32
; Occupancy: 8
; WaveLimiterHint : 1
; COMPUTE_PGM_RSRC2:SCRATCH_EN: 0
; COMPUTE_PGM_RSRC2:USER_SGPR: 2
; COMPUTE_PGM_RSRC2:TRAP_HANDLER: 0
; COMPUTE_PGM_RSRC2:TGID_X_EN: 1
; COMPUTE_PGM_RSRC2:TGID_Y_EN: 0
; COMPUTE_PGM_RSRC2:TGID_Z_EN: 0
; COMPUTE_PGM_RSRC2:TIDIG_COMP_CNT: 0
; COMPUTE_PGM_RSRC3_GFX90A:ACCUM_OFFSET: 7
; COMPUTE_PGM_RSRC3_GFX90A:TG_SPLIT: 0
	.section	.text._ZN2at6native12cross_kernelIN3c104HalfE16OffsetCalculatorILi3EjLb0EElEEviPT_PKS6_S9_T0_T1_SB_SB_,"axG",@progbits,_ZN2at6native12cross_kernelIN3c104HalfE16OffsetCalculatorILi3EjLb0EElEEviPT_PKS6_S9_T0_T1_SB_SB_,comdat
	.protected	_ZN2at6native12cross_kernelIN3c104HalfE16OffsetCalculatorILi3EjLb0EElEEviPT_PKS6_S9_T0_T1_SB_SB_ ; -- Begin function _ZN2at6native12cross_kernelIN3c104HalfE16OffsetCalculatorILi3EjLb0EElEEviPT_PKS6_S9_T0_T1_SB_SB_
	.globl	_ZN2at6native12cross_kernelIN3c104HalfE16OffsetCalculatorILi3EjLb0EElEEviPT_PKS6_S9_T0_T1_SB_SB_
	.p2align	8
	.type	_ZN2at6native12cross_kernelIN3c104HalfE16OffsetCalculatorILi3EjLb0EElEEviPT_PKS6_S9_T0_T1_SB_SB_,@function
_ZN2at6native12cross_kernelIN3c104HalfE16OffsetCalculatorILi3EjLb0EElEEviPT_PKS6_S9_T0_T1_SB_SB_: ; @_ZN2at6native12cross_kernelIN3c104HalfE16OffsetCalculatorILi3EjLb0EElEEviPT_PKS6_S9_T0_T1_SB_SB_
; %bb.0:
	s_load_dword s24, s[0:1], 0x0
	s_load_dword s3, s[0:1], 0x1cc
	v_mov_b32_e32 v1, 0
	v_mov_b32_e32 v2, s2
	s_waitcnt lgkmcnt(0)
	s_ashr_i32 s25, s24, 31
	s_add_u32 s20, s0, 0x1c0
	s_addc_u32 s21, s1, 0
	s_and_b32 s28, s3, 0xffff
	v_mad_u64_u32 v[2:3], s[2:3], s28, v2, v[0:1]
	v_cmp_gt_i64_e32 vcc, s[24:25], v[2:3]
	s_and_saveexec_b64 s[2:3], vcc
	s_cbranch_execz .LBB18_13
; %bb.1:
	s_load_dwordx8 s[4:11], s[0:1], 0x20
	s_load_dwordx4 s[12:15], s[0:1], 0x8
	s_load_dwordx2 s[2:3], s[0:1], 0x18
	s_load_dwordx2 s[44:45], s[0:1], 0x1b8
	s_load_dwordx4 s[16:19], s[0:1], 0x1a8
	s_load_dword s33, s[20:21], 0x0
	s_waitcnt lgkmcnt(0)
	s_add_i32 s11, s4, -1
	s_cmp_gt_u32 s11, 1
	s_cselect_b64 s[26:27], -1, 0
	s_cmp_lg_u32 s4, 0
	s_cselect_b64 s[30:31], -1, 0
	s_min_u32 s40, s11, 15
	s_cmp_gt_u32 s4, 1
	s_cselect_b64 s[36:37], -1, 0
	s_mov_b32 s4, s9
	s_add_i32 s9, s40, 1
	s_lshl_b64 s[38:39], s[44:45], 2
	s_and_b32 s9, s9, 30
	s_load_dwordx4 s[20:23], s[0:1], 0xe4
	s_load_dwordx2 s[34:35], s[0:1], 0xf4
	s_bitcmp0_b32 s40, 0
	s_cselect_b64 s[40:41], -1, 0
	s_lshl_b64 s[42:43], s[18:19], 1
	s_lshl_b64 s[46:47], s[44:45], 1
	s_sub_u32 s46, 0, s46
	s_subb_u32 s47, 0, s47
	s_lshl_b64 s[48:49], s[16:17], 1
	s_add_u32 s0, s0, 12
	s_mov_b32 s29, 0
	s_waitcnt lgkmcnt(0)
	s_mov_b32 s11, s21
	s_mov_b32 s21, s22
	s_mul_i32 s28, s33, s28
	s_mov_b64 s[44:45], 0
	s_addc_u32 s1, s1, 0
	s_branch .LBB18_3
.LBB18_2:                               ;   in Loop: Header=BB18_3 Depth=1
	v_mov_b32_e32 v7, v1
	v_lshl_add_u64 v[6:7], v[6:7], 1, s[14:15]
	v_mov_b32_e32 v5, v1
	v_lshl_add_u64 v[4:5], v[4:5], 1, s[2:3]
	v_lshl_add_u64 v[8:9], s[18:19], 1, v[6:7]
	;; [unrolled: 1-line block ×3, first 2 shown]
	global_load_ushort v12, v[8:9], off
	global_load_ushort v13, v[10:11], off
	v_lshl_add_u64 v[8:9], v[8:9], 0, s[42:43]
	v_lshl_add_u64 v[10:11], v[10:11], 0, s[46:47]
	global_load_ushort v14, v[8:9], off
	global_load_ushort v15, v[6:7], off
	;; [unrolled: 1-line block ×4, first 2 shown]
	v_lshl_add_u64 v[2:3], v[2:3], 0, s[28:29]
	v_lshl_add_u64 v[4:5], v[0:1], 1, s[12:13]
	v_cmp_le_i64_e32 vcc, s[24:25], v[2:3]
	v_lshl_add_u64 v[6:7], s[16:17], 1, v[4:5]
	s_or_b64 s[44:45], vcc, s[44:45]
	v_lshl_add_u64 v[8:9], v[6:7], 0, s[48:49]
	s_waitcnt vmcnt(2)
	v_mul_f16_e32 v0, v13, v15
	s_waitcnt vmcnt(1)
	v_mul_f16_e32 v10, v12, v16
	s_waitcnt vmcnt(0)
	v_mul_f16_e32 v11, v14, v17
	v_fma_f16 v11, v12, v13, -v11
	v_fma_f16 v0, v14, v16, -v0
	v_fma_f16 v10, v17, v15, -v10
	global_store_short v[4:5], v11, off
	global_store_short v[6:7], v0, off
	;; [unrolled: 1-line block ×3, first 2 shown]
	s_andn2_b64 exec, exec, s[44:45]
	s_cbranch_execz .LBB18_13
.LBB18_3:                               ; =>This Loop Header: Depth=1
                                        ;     Child Loop BB18_6 Depth 2
	s_andn2_b64 vcc, exec, s[26:27]
	s_cbranch_vccnz .LBB18_10
; %bb.4:                                ;   in Loop: Header=BB18_3 Depth=1
	s_andn2_b64 vcc, exec, s[30:31]
	v_mov_b32_e32 v4, 0
	v_mov_b32_e32 v6, 0
	;; [unrolled: 1-line block ×3, first 2 shown]
	s_cbranch_vccnz .LBB18_9
; %bb.5:                                ;   in Loop: Header=BB18_3 Depth=1
	v_mov_b32_e32 v0, 0
	s_mov_b32 s22, s9
	s_mov_b64 s[50:51], s[0:1]
	v_mov_b32_e32 v5, v2
	v_mov_b32_e32 v6, v0
	;; [unrolled: 1-line block ×3, first 2 shown]
.LBB18_6:                               ;   Parent Loop BB18_3 Depth=1
                                        ; =>  This Inner Loop Header: Depth=2
	s_mov_b64 s[60:61], s[50:51]
	s_load_dwordx4 s[52:55], s[60:61], 0x18
	s_load_dwordx2 s[62:63], s[60:61], 0x28
	s_load_dwordx2 s[64:65], s[60:61], 0xe8
	s_load_dwordx4 s[56:59], s[60:61], 0xd8
	s_add_u32 s50, s60, 24
	s_waitcnt lgkmcnt(0)
	v_mul_hi_u32 v7, s53, v5
	v_add_u32_e32 v7, v5, v7
	v_lshrrev_b32_e32 v7, s54, v7
	v_mul_lo_u32 v8, v7, s52
	v_mul_hi_u32 v9, s62, v7
	v_sub_u32_e32 v5, v5, v8
	v_add_u32_e32 v8, v7, v9
	v_mul_lo_u32 v9, v5, s56
	v_mul_lo_u32 v10, v5, s57
	;; [unrolled: 1-line block ×3, first 2 shown]
	v_lshrrev_b32_e32 v5, s63, v8
	v_mul_lo_u32 v8, v5, s55
	v_sub_u32_e32 v7, v7, v8
	s_addc_u32 s51, s61, 0
	s_add_i32 s22, s22, -2
	v_mul_lo_u32 v8, v7, s59
	v_mul_lo_u32 v12, v7, s64
	;; [unrolled: 1-line block ×3, first 2 shown]
	s_cmp_lg_u32 s22, 0
	v_add3_u32 v0, v9, v0, v8
	v_add3_u32 v4, v11, v4, v7
	v_add3_u32 v6, v10, v6, v12
	s_cbranch_scc1 .LBB18_6
; %bb.7:                                ;   in Loop: Header=BB18_3 Depth=1
	s_andn2_b64 vcc, exec, s[40:41]
	s_cbranch_vccnz .LBB18_9
; %bb.8:                                ;   in Loop: Header=BB18_3 Depth=1
	s_load_dwordx2 s[52:53], s[50:51], 0x18
	s_load_dword s22, s[50:51], 0x20
	s_load_dword s33, s[50:51], 0xe0
	s_nop 0
	s_load_dwordx2 s[50:51], s[50:51], 0xd8
	s_waitcnt lgkmcnt(0)
	v_mul_hi_u32 v7, s53, v5
	v_add_u32_e32 v7, v5, v7
	v_lshrrev_b32_e32 v7, s22, v7
	v_mul_lo_u32 v7, v7, s52
	v_sub_u32_e32 v5, v5, v7
	v_mad_u64_u32 v[8:9], s[52:53], v5, s50, v[0:1]
	v_mad_u64_u32 v[6:7], s[50:51], v5, s51, v[6:7]
	;; [unrolled: 1-line block ×3, first 2 shown]
	v_mov_b32_e32 v0, v8
.LBB18_9:                               ;   in Loop: Header=BB18_3 Depth=1
	s_cbranch_execnz .LBB18_2
	s_branch .LBB18_11
.LBB18_10:                              ;   in Loop: Header=BB18_3 Depth=1
                                        ; implicit-def: $vgpr4
                                        ; implicit-def: $vgpr6
.LBB18_11:                              ;   in Loop: Header=BB18_3 Depth=1
	v_mul_hi_u32 v0, v2, s6
	v_add_u32_e32 v0, v0, v2
	v_lshrrev_b32_e32 v5, s7, v0
	v_mul_lo_u32 v0, v5, s5
	v_sub_u32_e32 v6, v2, v0
	v_mul_lo_u32 v0, v6, s20
	v_mul_lo_u32 v4, v6, s21
	s_andn2_b64 vcc, exec, s[36:37]
	v_mul_lo_u32 v6, v6, s11
	s_cbranch_vccnz .LBB18_2
; %bb.12:                               ;   in Loop: Header=BB18_3 Depth=1
	v_mul_hi_u32 v7, s4, v5
	v_add_u32_e32 v7, v5, v7
	v_lshrrev_b32_e32 v7, s10, v7
	v_mul_lo_u32 v7, v7, s8
	v_sub_u32_e32 v5, v5, v7
	v_mad_u64_u32 v[8:9], s[50:51], v5, s23, v[0:1]
	v_mad_u64_u32 v[6:7], s[50:51], v5, s34, v[6:7]
	;; [unrolled: 1-line block ×3, first 2 shown]
	v_mov_b32_e32 v0, v8
	s_branch .LBB18_2
.LBB18_13:
	s_endpgm
	.section	.rodata,"a",@progbits
	.p2align	6, 0x0
	.amdhsa_kernel _ZN2at6native12cross_kernelIN3c104HalfE16OffsetCalculatorILi3EjLb0EElEEviPT_PKS6_S9_T0_T1_SB_SB_
		.amdhsa_group_segment_fixed_size 0
		.amdhsa_private_segment_fixed_size 0
		.amdhsa_kernarg_size 704
		.amdhsa_user_sgpr_count 2
		.amdhsa_user_sgpr_dispatch_ptr 0
		.amdhsa_user_sgpr_queue_ptr 0
		.amdhsa_user_sgpr_kernarg_segment_ptr 1
		.amdhsa_user_sgpr_dispatch_id 0
		.amdhsa_user_sgpr_kernarg_preload_length 0
		.amdhsa_user_sgpr_kernarg_preload_offset 0
		.amdhsa_user_sgpr_private_segment_size 0
		.amdhsa_uses_dynamic_stack 0
		.amdhsa_enable_private_segment 0
		.amdhsa_system_sgpr_workgroup_id_x 1
		.amdhsa_system_sgpr_workgroup_id_y 0
		.amdhsa_system_sgpr_workgroup_id_z 0
		.amdhsa_system_sgpr_workgroup_info 0
		.amdhsa_system_vgpr_workitem_id 0
		.amdhsa_next_free_vgpr 18
		.amdhsa_next_free_sgpr 66
		.amdhsa_accum_offset 20
		.amdhsa_reserve_vcc 1
		.amdhsa_float_round_mode_32 0
		.amdhsa_float_round_mode_16_64 0
		.amdhsa_float_denorm_mode_32 3
		.amdhsa_float_denorm_mode_16_64 3
		.amdhsa_dx10_clamp 1
		.amdhsa_ieee_mode 1
		.amdhsa_fp16_overflow 0
		.amdhsa_tg_split 0
		.amdhsa_exception_fp_ieee_invalid_op 0
		.amdhsa_exception_fp_denorm_src 0
		.amdhsa_exception_fp_ieee_div_zero 0
		.amdhsa_exception_fp_ieee_overflow 0
		.amdhsa_exception_fp_ieee_underflow 0
		.amdhsa_exception_fp_ieee_inexact 0
		.amdhsa_exception_int_div_zero 0
	.end_amdhsa_kernel
	.section	.text._ZN2at6native12cross_kernelIN3c104HalfE16OffsetCalculatorILi3EjLb0EElEEviPT_PKS6_S9_T0_T1_SB_SB_,"axG",@progbits,_ZN2at6native12cross_kernelIN3c104HalfE16OffsetCalculatorILi3EjLb0EElEEviPT_PKS6_S9_T0_T1_SB_SB_,comdat
.Lfunc_end18:
	.size	_ZN2at6native12cross_kernelIN3c104HalfE16OffsetCalculatorILi3EjLb0EElEEviPT_PKS6_S9_T0_T1_SB_SB_, .Lfunc_end18-_ZN2at6native12cross_kernelIN3c104HalfE16OffsetCalculatorILi3EjLb0EElEEviPT_PKS6_S9_T0_T1_SB_SB_
                                        ; -- End function
	.section	.AMDGPU.csdata,"",@progbits
; Kernel info:
; codeLenInByte = 952
; NumSgprs: 72
; NumVgprs: 18
; NumAgprs: 0
; TotalNumVgprs: 18
; ScratchSize: 0
; MemoryBound: 0
; FloatMode: 240
; IeeeMode: 1
; LDSByteSize: 0 bytes/workgroup (compile time only)
; SGPRBlocks: 8
; VGPRBlocks: 2
; NumSGPRsForWavesPerEU: 72
; NumVGPRsForWavesPerEU: 18
; AccumOffset: 20
; Occupancy: 8
; WaveLimiterHint : 1
; COMPUTE_PGM_RSRC2:SCRATCH_EN: 0
; COMPUTE_PGM_RSRC2:USER_SGPR: 2
; COMPUTE_PGM_RSRC2:TRAP_HANDLER: 0
; COMPUTE_PGM_RSRC2:TGID_X_EN: 1
; COMPUTE_PGM_RSRC2:TGID_Y_EN: 0
; COMPUTE_PGM_RSRC2:TGID_Z_EN: 0
; COMPUTE_PGM_RSRC2:TIDIG_COMP_CNT: 0
; COMPUTE_PGM_RSRC3_GFX90A:ACCUM_OFFSET: 4
; COMPUTE_PGM_RSRC3_GFX90A:TG_SPLIT: 0
	.section	.text._ZN2at6native12cross_kernelIN3c104HalfE16OffsetCalculatorILi3EjLb0EEiEEviPT_PKS6_S9_T0_T1_SB_SB_,"axG",@progbits,_ZN2at6native12cross_kernelIN3c104HalfE16OffsetCalculatorILi3EjLb0EEiEEviPT_PKS6_S9_T0_T1_SB_SB_,comdat
	.protected	_ZN2at6native12cross_kernelIN3c104HalfE16OffsetCalculatorILi3EjLb0EEiEEviPT_PKS6_S9_T0_T1_SB_SB_ ; -- Begin function _ZN2at6native12cross_kernelIN3c104HalfE16OffsetCalculatorILi3EjLb0EEiEEviPT_PKS6_S9_T0_T1_SB_SB_
	.globl	_ZN2at6native12cross_kernelIN3c104HalfE16OffsetCalculatorILi3EjLb0EEiEEviPT_PKS6_S9_T0_T1_SB_SB_
	.p2align	8
	.type	_ZN2at6native12cross_kernelIN3c104HalfE16OffsetCalculatorILi3EjLb0EEiEEviPT_PKS6_S9_T0_T1_SB_SB_,@function
_ZN2at6native12cross_kernelIN3c104HalfE16OffsetCalculatorILi3EjLb0EEiEEviPT_PKS6_S9_T0_T1_SB_SB_: ; @_ZN2at6native12cross_kernelIN3c104HalfE16OffsetCalculatorILi3EjLb0EEiEEviPT_PKS6_S9_T0_T1_SB_SB_
; %bb.0:
	s_load_dword s24, s[0:1], 0x0
	s_load_dword s3, s[0:1], 0x1bc
	v_mov_b32_e32 v1, 0
	v_mov_b32_e32 v2, s2
	s_waitcnt lgkmcnt(0)
	s_ashr_i32 s25, s24, 31
	s_add_u32 s20, s0, 0x1b0
	s_addc_u32 s21, s1, 0
	s_and_b32 s28, s3, 0xffff
	v_mad_u64_u32 v[2:3], s[2:3], s28, v2, v[0:1]
	v_cmp_gt_i64_e32 vcc, s[24:25], v[2:3]
	s_and_saveexec_b64 s[2:3], vcc
	s_cbranch_execz .LBB19_13
; %bb.1:
	s_load_dwordx8 s[4:11], s[0:1], 0x20
	s_load_dwordx4 s[12:15], s[0:1], 0x8
	s_load_dwordx2 s[2:3], s[0:1], 0x18
	s_load_dwordx4 s[16:19], s[0:1], 0x1a4
	s_waitcnt lgkmcnt(0)
	s_load_dword s19, s[20:21], 0x0
	s_add_i32 s11, s4, -1
	s_cmp_gt_u32 s11, 1
	s_cselect_b64 s[26:27], -1, 0
	s_cmp_lg_u32 s4, 0
	s_cselect_b64 s[30:31], -1, 0
	s_min_u32 s33, s11, 15
	s_cmp_gt_u32 s4, 1
	s_cselect_b64 s[36:37], -1, 0
	s_mov_b32 s4, s9
	s_lshl_b32 s40, s18, 1
	s_add_i32 s9, s33, 1
	s_ashr_i32 s39, s17, 31
	s_mov_b32 s38, s17
	s_ashr_i32 s41, s40, 31
	s_ashr_i32 s17, s16, 31
	s_and_b32 s9, s9, 30
	s_bitcmp0_b32 s33, 0
                                        ; kill: killed $sgpr20 killed $sgpr21
	s_load_dwordx4 s[20:23], s[0:1], 0xe4
	s_load_dwordx2 s[34:35], s[0:1], 0xf4
	s_waitcnt lgkmcnt(0)
	s_mul_i32 s28, s19, s28
	s_cselect_b64 s[42:43], -1, 0
	s_ashr_i32 s19, s18, 31
	s_lshl_b64 s[44:45], s[38:39], 1
	s_lshl_b64 s[46:47], s[18:19], 1
	s_sub_u32 s46, 0, s46
	s_subb_u32 s47, 0, s47
	s_lshl_b64 s[48:49], s[16:17], 1
	s_add_u32 s0, s0, 12
	s_mov_b32 s29, 0
	s_mov_b32 s11, s21
	s_mov_b32 s21, s22
	s_mov_b64 s[18:19], 0
	s_addc_u32 s1, s1, 0
	s_branch .LBB19_3
.LBB19_2:                               ;   in Loop: Header=BB19_3 Depth=1
	v_mov_b32_e32 v7, v1
	v_lshl_add_u64 v[6:7], v[6:7], 1, s[14:15]
	v_mov_b32_e32 v5, v1
	v_lshl_add_u64 v[4:5], v[4:5], 1, s[2:3]
	v_lshl_add_u64 v[8:9], s[38:39], 1, v[6:7]
	;; [unrolled: 1-line block ×3, first 2 shown]
	global_load_ushort v12, v[8:9], off
	global_load_ushort v13, v[10:11], off
	v_lshl_add_u64 v[8:9], v[8:9], 0, s[44:45]
	v_lshl_add_u64 v[10:11], v[10:11], 0, s[46:47]
	global_load_ushort v14, v[8:9], off
	global_load_ushort v15, v[6:7], off
	;; [unrolled: 1-line block ×4, first 2 shown]
	v_lshl_add_u64 v[2:3], v[2:3], 0, s[28:29]
	v_lshl_add_u64 v[4:5], v[0:1], 1, s[12:13]
	v_cmp_le_i64_e32 vcc, s[24:25], v[2:3]
	v_lshl_add_u64 v[6:7], s[16:17], 1, v[4:5]
	s_or_b64 s[18:19], vcc, s[18:19]
	v_lshl_add_u64 v[8:9], v[6:7], 0, s[48:49]
	s_waitcnt vmcnt(2)
	v_mul_f16_e32 v0, v13, v15
	s_waitcnt vmcnt(1)
	v_mul_f16_e32 v10, v12, v16
	;; [unrolled: 2-line block ×3, first 2 shown]
	v_fma_f16 v11, v12, v13, -v11
	v_fma_f16 v0, v14, v16, -v0
	;; [unrolled: 1-line block ×3, first 2 shown]
	global_store_short v[4:5], v11, off
	global_store_short v[6:7], v0, off
	;; [unrolled: 1-line block ×3, first 2 shown]
	s_andn2_b64 exec, exec, s[18:19]
	s_cbranch_execz .LBB19_13
.LBB19_3:                               ; =>This Loop Header: Depth=1
                                        ;     Child Loop BB19_6 Depth 2
	s_andn2_b64 vcc, exec, s[26:27]
	s_cbranch_vccnz .LBB19_10
; %bb.4:                                ;   in Loop: Header=BB19_3 Depth=1
	s_andn2_b64 vcc, exec, s[30:31]
	v_mov_b32_e32 v4, 0
	v_mov_b32_e32 v6, 0
	;; [unrolled: 1-line block ×3, first 2 shown]
	s_cbranch_vccnz .LBB19_9
; %bb.5:                                ;   in Loop: Header=BB19_3 Depth=1
	v_mov_b32_e32 v0, 0
	s_mov_b32 s22, s9
	s_mov_b64 s[50:51], s[0:1]
	v_mov_b32_e32 v5, v2
	v_mov_b32_e32 v6, v0
	;; [unrolled: 1-line block ×3, first 2 shown]
.LBB19_6:                               ;   Parent Loop BB19_3 Depth=1
                                        ; =>  This Inner Loop Header: Depth=2
	s_mov_b64 s[60:61], s[50:51]
	s_load_dwordx4 s[52:55], s[60:61], 0x18
	s_load_dwordx2 s[62:63], s[60:61], 0x28
	s_load_dwordx2 s[64:65], s[60:61], 0xe8
	s_load_dwordx4 s[56:59], s[60:61], 0xd8
	s_add_u32 s50, s60, 24
	s_waitcnt lgkmcnt(0)
	v_mul_hi_u32 v7, s53, v5
	v_add_u32_e32 v7, v5, v7
	v_lshrrev_b32_e32 v7, s54, v7
	v_mul_lo_u32 v8, v7, s52
	v_mul_hi_u32 v9, s62, v7
	v_sub_u32_e32 v5, v5, v8
	v_add_u32_e32 v8, v7, v9
	v_mul_lo_u32 v9, v5, s56
	v_mul_lo_u32 v10, v5, s57
	;; [unrolled: 1-line block ×3, first 2 shown]
	v_lshrrev_b32_e32 v5, s63, v8
	v_mul_lo_u32 v8, v5, s55
	v_sub_u32_e32 v7, v7, v8
	s_addc_u32 s51, s61, 0
	s_add_i32 s22, s22, -2
	v_mul_lo_u32 v8, v7, s59
	v_mul_lo_u32 v12, v7, s64
	;; [unrolled: 1-line block ×3, first 2 shown]
	s_cmp_lg_u32 s22, 0
	v_add3_u32 v0, v9, v0, v8
	v_add3_u32 v4, v11, v4, v7
	;; [unrolled: 1-line block ×3, first 2 shown]
	s_cbranch_scc1 .LBB19_6
; %bb.7:                                ;   in Loop: Header=BB19_3 Depth=1
	s_andn2_b64 vcc, exec, s[42:43]
	s_cbranch_vccnz .LBB19_9
; %bb.8:                                ;   in Loop: Header=BB19_3 Depth=1
	s_load_dwordx2 s[52:53], s[50:51], 0x18
	s_load_dword s22, s[50:51], 0x20
	s_load_dword s33, s[50:51], 0xe0
	s_nop 0
	s_load_dwordx2 s[50:51], s[50:51], 0xd8
	s_waitcnt lgkmcnt(0)
	v_mul_hi_u32 v7, s53, v5
	v_add_u32_e32 v7, v5, v7
	v_lshrrev_b32_e32 v7, s22, v7
	v_mul_lo_u32 v7, v7, s52
	v_sub_u32_e32 v5, v5, v7
	v_mad_u64_u32 v[8:9], s[52:53], v5, s50, v[0:1]
	v_mad_u64_u32 v[6:7], s[50:51], v5, s51, v[6:7]
	;; [unrolled: 1-line block ×3, first 2 shown]
	v_mov_b32_e32 v0, v8
.LBB19_9:                               ;   in Loop: Header=BB19_3 Depth=1
	s_cbranch_execnz .LBB19_2
	s_branch .LBB19_11
.LBB19_10:                              ;   in Loop: Header=BB19_3 Depth=1
                                        ; implicit-def: $vgpr4
                                        ; implicit-def: $vgpr6
.LBB19_11:                              ;   in Loop: Header=BB19_3 Depth=1
	v_mul_hi_u32 v0, v2, s6
	v_add_u32_e32 v0, v0, v2
	v_lshrrev_b32_e32 v5, s7, v0
	v_mul_lo_u32 v0, v5, s5
	v_sub_u32_e32 v6, v2, v0
	v_mul_lo_u32 v0, v6, s20
	v_mul_lo_u32 v4, v6, s21
	s_andn2_b64 vcc, exec, s[36:37]
	v_mul_lo_u32 v6, v6, s11
	s_cbranch_vccnz .LBB19_2
; %bb.12:                               ;   in Loop: Header=BB19_3 Depth=1
	v_mul_hi_u32 v7, s4, v5
	v_add_u32_e32 v7, v5, v7
	v_lshrrev_b32_e32 v7, s10, v7
	v_mul_lo_u32 v7, v7, s8
	v_sub_u32_e32 v5, v5, v7
	v_mad_u64_u32 v[8:9], s[50:51], v5, s23, v[0:1]
	v_mad_u64_u32 v[6:7], s[50:51], v5, s34, v[6:7]
	;; [unrolled: 1-line block ×3, first 2 shown]
	v_mov_b32_e32 v0, v8
	s_branch .LBB19_2
.LBB19_13:
	s_endpgm
	.section	.rodata,"a",@progbits
	.p2align	6, 0x0
	.amdhsa_kernel _ZN2at6native12cross_kernelIN3c104HalfE16OffsetCalculatorILi3EjLb0EEiEEviPT_PKS6_S9_T0_T1_SB_SB_
		.amdhsa_group_segment_fixed_size 0
		.amdhsa_private_segment_fixed_size 0
		.amdhsa_kernarg_size 688
		.amdhsa_user_sgpr_count 2
		.amdhsa_user_sgpr_dispatch_ptr 0
		.amdhsa_user_sgpr_queue_ptr 0
		.amdhsa_user_sgpr_kernarg_segment_ptr 1
		.amdhsa_user_sgpr_dispatch_id 0
		.amdhsa_user_sgpr_kernarg_preload_length 0
		.amdhsa_user_sgpr_kernarg_preload_offset 0
		.amdhsa_user_sgpr_private_segment_size 0
		.amdhsa_uses_dynamic_stack 0
		.amdhsa_enable_private_segment 0
		.amdhsa_system_sgpr_workgroup_id_x 1
		.amdhsa_system_sgpr_workgroup_id_y 0
		.amdhsa_system_sgpr_workgroup_id_z 0
		.amdhsa_system_sgpr_workgroup_info 0
		.amdhsa_system_vgpr_workitem_id 0
		.amdhsa_next_free_vgpr 18
		.amdhsa_next_free_sgpr 66
		.amdhsa_accum_offset 20
		.amdhsa_reserve_vcc 1
		.amdhsa_float_round_mode_32 0
		.amdhsa_float_round_mode_16_64 0
		.amdhsa_float_denorm_mode_32 3
		.amdhsa_float_denorm_mode_16_64 3
		.amdhsa_dx10_clamp 1
		.amdhsa_ieee_mode 1
		.amdhsa_fp16_overflow 0
		.amdhsa_tg_split 0
		.amdhsa_exception_fp_ieee_invalid_op 0
		.amdhsa_exception_fp_denorm_src 0
		.amdhsa_exception_fp_ieee_div_zero 0
		.amdhsa_exception_fp_ieee_overflow 0
		.amdhsa_exception_fp_ieee_underflow 0
		.amdhsa_exception_fp_ieee_inexact 0
		.amdhsa_exception_int_div_zero 0
	.end_amdhsa_kernel
	.section	.text._ZN2at6native12cross_kernelIN3c104HalfE16OffsetCalculatorILi3EjLb0EEiEEviPT_PKS6_S9_T0_T1_SB_SB_,"axG",@progbits,_ZN2at6native12cross_kernelIN3c104HalfE16OffsetCalculatorILi3EjLb0EEiEEviPT_PKS6_S9_T0_T1_SB_SB_,comdat
.Lfunc_end19:
	.size	_ZN2at6native12cross_kernelIN3c104HalfE16OffsetCalculatorILi3EjLb0EEiEEviPT_PKS6_S9_T0_T1_SB_SB_, .Lfunc_end19-_ZN2at6native12cross_kernelIN3c104HalfE16OffsetCalculatorILi3EjLb0EEiEEviPT_PKS6_S9_T0_T1_SB_SB_
                                        ; -- End function
	.section	.AMDGPU.csdata,"",@progbits
; Kernel info:
; codeLenInByte = 964
; NumSgprs: 72
; NumVgprs: 18
; NumAgprs: 0
; TotalNumVgprs: 18
; ScratchSize: 0
; MemoryBound: 0
; FloatMode: 240
; IeeeMode: 1
; LDSByteSize: 0 bytes/workgroup (compile time only)
; SGPRBlocks: 8
; VGPRBlocks: 2
; NumSGPRsForWavesPerEU: 72
; NumVGPRsForWavesPerEU: 18
; AccumOffset: 20
; Occupancy: 8
; WaveLimiterHint : 1
; COMPUTE_PGM_RSRC2:SCRATCH_EN: 0
; COMPUTE_PGM_RSRC2:USER_SGPR: 2
; COMPUTE_PGM_RSRC2:TRAP_HANDLER: 0
; COMPUTE_PGM_RSRC2:TGID_X_EN: 1
; COMPUTE_PGM_RSRC2:TGID_Y_EN: 0
; COMPUTE_PGM_RSRC2:TGID_Z_EN: 0
; COMPUTE_PGM_RSRC2:TIDIG_COMP_CNT: 0
; COMPUTE_PGM_RSRC3_GFX90A:ACCUM_OFFSET: 4
; COMPUTE_PGM_RSRC3_GFX90A:TG_SPLIT: 0
	.section	.text._ZN2at6native12cross_kernelIN3c108BFloat16E16OffsetCalculatorILi3EjLb0EElEEviPT_PKS6_S9_T0_T1_SB_SB_,"axG",@progbits,_ZN2at6native12cross_kernelIN3c108BFloat16E16OffsetCalculatorILi3EjLb0EElEEviPT_PKS6_S9_T0_T1_SB_SB_,comdat
	.protected	_ZN2at6native12cross_kernelIN3c108BFloat16E16OffsetCalculatorILi3EjLb0EElEEviPT_PKS6_S9_T0_T1_SB_SB_ ; -- Begin function _ZN2at6native12cross_kernelIN3c108BFloat16E16OffsetCalculatorILi3EjLb0EElEEviPT_PKS6_S9_T0_T1_SB_SB_
	.globl	_ZN2at6native12cross_kernelIN3c108BFloat16E16OffsetCalculatorILi3EjLb0EElEEviPT_PKS6_S9_T0_T1_SB_SB_
	.p2align	8
	.type	_ZN2at6native12cross_kernelIN3c108BFloat16E16OffsetCalculatorILi3EjLb0EElEEviPT_PKS6_S9_T0_T1_SB_SB_,@function
_ZN2at6native12cross_kernelIN3c108BFloat16E16OffsetCalculatorILi3EjLb0EElEEviPT_PKS6_S9_T0_T1_SB_SB_: ; @_ZN2at6native12cross_kernelIN3c108BFloat16E16OffsetCalculatorILi3EjLb0EElEEviPT_PKS6_S9_T0_T1_SB_SB_
; %bb.0:
	s_load_dword s24, s[0:1], 0x0
	s_load_dword s3, s[0:1], 0x1cc
	v_mov_b32_e32 v1, 0
	v_mov_b32_e32 v2, s2
	s_waitcnt lgkmcnt(0)
	s_ashr_i32 s25, s24, 31
	s_add_u32 s20, s0, 0x1c0
	s_addc_u32 s21, s1, 0
	s_and_b32 s28, s3, 0xffff
	v_mad_u64_u32 v[2:3], s[2:3], s28, v2, v[0:1]
	v_cmp_gt_i64_e32 vcc, s[24:25], v[2:3]
	s_and_saveexec_b64 s[2:3], vcc
	s_cbranch_execz .LBB20_13
; %bb.1:
	s_load_dwordx8 s[4:11], s[0:1], 0x20
	s_load_dwordx4 s[12:15], s[0:1], 0x8
	s_load_dwordx2 s[2:3], s[0:1], 0x18
	s_load_dwordx2 s[44:45], s[0:1], 0x1b8
	s_load_dwordx4 s[16:19], s[0:1], 0x1a8
	s_load_dword s33, s[20:21], 0x0
	s_waitcnt lgkmcnt(0)
	s_add_i32 s11, s4, -1
	s_cmp_gt_u32 s11, 1
	s_cselect_b64 s[26:27], -1, 0
	s_cmp_lg_u32 s4, 0
	s_cselect_b64 s[30:31], -1, 0
	s_min_u32 s40, s11, 15
	s_cmp_gt_u32 s4, 1
	s_cselect_b64 s[36:37], -1, 0
	s_mov_b32 s4, s9
	s_add_i32 s9, s40, 1
	s_lshl_b64 s[38:39], s[44:45], 2
	s_and_b32 s9, s9, 30
	s_load_dwordx4 s[20:23], s[0:1], 0xe4
	s_load_dwordx2 s[34:35], s[0:1], 0xf4
	s_bitcmp0_b32 s40, 0
	s_cselect_b64 s[40:41], -1, 0
	s_lshl_b64 s[42:43], s[18:19], 1
	s_lshl_b64 s[46:47], s[44:45], 1
	s_sub_u32 s46, 0, s46
	s_subb_u32 s47, 0, s47
	s_lshl_b64 s[48:49], s[16:17], 1
	s_add_u32 s0, s0, 12
	s_mov_b32 s29, 0
	s_waitcnt lgkmcnt(0)
	s_mov_b32 s11, s21
	s_mov_b32 s21, s22
	s_mul_i32 s28, s33, s28
	s_mov_b64 s[44:45], 0
	s_addc_u32 s1, s1, 0
	s_movk_i32 s22, 0x7fff
	v_mov_b32_e32 v8, 0x7fc00000
	v_mov_b32_e32 v9, 0x7fc0
	s_branch .LBB20_3
.LBB20_2:                               ;   in Loop: Header=BB20_3 Depth=1
	v_mov_b32_e32 v7, v1
	v_mov_b32_e32 v5, v1
	v_lshl_add_u64 v[6:7], v[6:7], 1, s[14:15]
	v_lshl_add_u64 v[4:5], v[4:5], 1, s[2:3]
	;; [unrolled: 1-line block ×5, first 2 shown]
	global_load_ushort v16, v[4:5], off
	global_load_ushort v17, v[6:7], off
	;; [unrolled: 1-line block ×5, first 2 shown]
	v_lshl_add_u64 v[4:5], v[10:11], 0, s[42:43]
	global_load_ushort v21, v[4:5], off
	v_lshl_add_u64 v[2:3], v[2:3], 0, s[28:29]
	v_lshl_add_u64 v[4:5], v[0:1], 1, s[12:13]
	v_cmp_le_i64_e32 vcc, s[24:25], v[2:3]
	s_or_b64 s[44:45], vcc, s[44:45]
	v_lshl_add_u64 v[6:7], s[16:17], 1, v[4:5]
	v_lshl_add_u64 v[10:11], v[6:7], 0, s[48:49]
	s_waitcnt vmcnt(5)
	v_lshlrev_b32_e32 v13, 16, v16
	s_waitcnt vmcnt(4)
	v_lshlrev_b32_e32 v12, 16, v17
	;; [unrolled: 2-line block ×5, first 2 shown]
	v_mov_b32_e32 v18, v15
	s_waitcnt vmcnt(0)
	v_lshlrev_b32_e32 v17, 16, v21
	v_mov_b32_e32 v19, v14
	v_pk_mul_f32 v[20:21], v[16:17], v[12:13]
	v_pk_mul_f32 v[12:13], v[14:15], v[12:13]
	;; [unrolled: 1-line block ×3, first 2 shown]
	v_bfe_u32 v16, v20, 16, 1
	v_bfe_u32 v0, v21, 16, 1
	v_add3_u32 v16, v20, v16, s22
	v_bfe_u32 v18, v13, 16, 1
	v_add3_u32 v0, v21, v0, s22
	v_and_b32_e32 v16, 0xffff0000, v16
	v_cmp_o_f32_e32 vcc, v20, v20
	v_bfe_u32 v17, v12, 16, 1
	v_add3_u32 v18, v13, v18, s22
	v_and_b32_e32 v0, 0xffff0000, v0
	v_cndmask_b32_e32 v16, v8, v16, vcc
	v_cmp_o_f32_e32 vcc, v21, v21
	v_bfe_u32 v22, v15, 16, 1
	v_add3_u32 v17, v12, v17, s22
	v_and_b32_e32 v18, 0xffff0000, v18
	v_cndmask_b32_e32 v0, v8, v0, vcc
	;; [unrolled: 5-line block ×3, first 2 shown]
	v_cmp_o_f32_e32 vcc, v12, v12
	v_add3_u32 v19, v14, v19, s22
	v_and_b32_e32 v22, 0xffff0000, v22
	v_cndmask_b32_e32 v12, v8, v17, vcc
	v_cmp_o_f32_e32 vcc, v15, v15
	v_and_b32_e32 v19, 0xffff0000, v19
	v_sub_f32_e32 v0, v0, v16
	v_cndmask_b32_e32 v15, v8, v22, vcc
	v_cmp_o_f32_e32 vcc, v14, v14
	v_sub_f32_e32 v12, v12, v13
	s_nop 0
	v_cndmask_b32_e32 v14, v8, v19, vcc
	v_sub_f32_e32 v13, v14, v15
	v_bfe_u32 v14, v0, 16, 1
	v_bfe_u32 v15, v12, 16, 1
	v_add3_u32 v14, v0, v14, s22
	v_bfe_u32 v16, v13, 16, 1
	v_add3_u32 v15, v12, v15, s22
	v_lshrrev_b32_e32 v14, 16, v14
	v_cmp_o_f32_e32 vcc, v0, v0
	v_add3_u32 v16, v13, v16, s22
	v_lshrrev_b32_e32 v15, 16, v15
	v_cndmask_b32_e32 v0, v9, v14, vcc
	v_cmp_o_f32_e32 vcc, v12, v12
	v_lshrrev_b32_e32 v16, 16, v16
	s_nop 0
	v_cndmask_b32_e32 v12, v9, v15, vcc
	v_cmp_o_f32_e32 vcc, v13, v13
	s_nop 1
	v_cndmask_b32_e32 v13, v9, v16, vcc
	global_store_short v[4:5], v13, off
	global_store_short v[6:7], v0, off
	;; [unrolled: 1-line block ×3, first 2 shown]
	s_andn2_b64 exec, exec, s[44:45]
	s_cbranch_execz .LBB20_13
.LBB20_3:                               ; =>This Loop Header: Depth=1
                                        ;     Child Loop BB20_6 Depth 2
	s_andn2_b64 vcc, exec, s[26:27]
	s_cbranch_vccnz .LBB20_10
; %bb.4:                                ;   in Loop: Header=BB20_3 Depth=1
	s_andn2_b64 vcc, exec, s[30:31]
	v_mov_b32_e32 v4, 0
	v_mov_b32_e32 v6, 0
	;; [unrolled: 1-line block ×3, first 2 shown]
	s_cbranch_vccnz .LBB20_9
; %bb.5:                                ;   in Loop: Header=BB20_3 Depth=1
	v_mov_b32_e32 v0, 0
	s_mov_b32 s33, s9
	s_mov_b64 s[50:51], s[0:1]
	v_mov_b32_e32 v5, v2
	v_mov_b32_e32 v6, v0
	v_mov_b32_e32 v4, v0
.LBB20_6:                               ;   Parent Loop BB20_3 Depth=1
                                        ; =>  This Inner Loop Header: Depth=2
	s_mov_b64 s[60:61], s[50:51]
	s_load_dwordx4 s[52:55], s[60:61], 0x18
	s_load_dwordx2 s[62:63], s[60:61], 0x28
	s_load_dwordx2 s[64:65], s[60:61], 0xe8
	s_load_dwordx4 s[56:59], s[60:61], 0xd8
	s_add_u32 s50, s60, 24
	s_waitcnt lgkmcnt(0)
	v_mul_hi_u32 v7, s53, v5
	v_add_u32_e32 v7, v5, v7
	v_lshrrev_b32_e32 v7, s54, v7
	v_mul_lo_u32 v10, v7, s52
	v_mul_hi_u32 v11, s62, v7
	v_sub_u32_e32 v5, v5, v10
	v_add_u32_e32 v10, v7, v11
	v_mul_lo_u32 v11, v5, s56
	v_mul_lo_u32 v12, v5, s57
	;; [unrolled: 1-line block ×3, first 2 shown]
	v_lshrrev_b32_e32 v5, s63, v10
	v_mul_lo_u32 v10, v5, s55
	v_sub_u32_e32 v7, v7, v10
	s_addc_u32 s51, s61, 0
	s_add_i32 s33, s33, -2
	v_mul_lo_u32 v10, v7, s59
	v_mul_lo_u32 v14, v7, s64
	;; [unrolled: 1-line block ×3, first 2 shown]
	s_cmp_lg_u32 s33, 0
	v_add3_u32 v0, v11, v0, v10
	v_add3_u32 v4, v13, v4, v7
	;; [unrolled: 1-line block ×3, first 2 shown]
	s_cbranch_scc1 .LBB20_6
; %bb.7:                                ;   in Loop: Header=BB20_3 Depth=1
	s_andn2_b64 vcc, exec, s[40:41]
	s_cbranch_vccnz .LBB20_9
; %bb.8:                                ;   in Loop: Header=BB20_3 Depth=1
	s_load_dwordx2 s[52:53], s[50:51], 0x18
	s_load_dword s33, s[50:51], 0x20
	s_load_dword s54, s[50:51], 0xe0
	s_nop 0
	s_load_dwordx2 s[50:51], s[50:51], 0xd8
	s_waitcnt lgkmcnt(0)
	v_mul_hi_u32 v7, s53, v5
	v_add_u32_e32 v7, v5, v7
	v_lshrrev_b32_e32 v7, s33, v7
	v_mul_lo_u32 v7, v7, s52
	v_sub_u32_e32 v5, v5, v7
	v_mad_u64_u32 v[10:11], s[52:53], v5, s50, v[0:1]
	v_mad_u64_u32 v[6:7], s[50:51], v5, s51, v[6:7]
	;; [unrolled: 1-line block ×3, first 2 shown]
	v_mov_b32_e32 v0, v10
.LBB20_9:                               ;   in Loop: Header=BB20_3 Depth=1
	s_cbranch_execnz .LBB20_2
	s_branch .LBB20_11
.LBB20_10:                              ;   in Loop: Header=BB20_3 Depth=1
                                        ; implicit-def: $vgpr4
                                        ; implicit-def: $vgpr6
.LBB20_11:                              ;   in Loop: Header=BB20_3 Depth=1
	v_mul_hi_u32 v0, v2, s6
	v_add_u32_e32 v0, v0, v2
	v_lshrrev_b32_e32 v5, s7, v0
	v_mul_lo_u32 v0, v5, s5
	v_sub_u32_e32 v6, v2, v0
	v_mul_lo_u32 v0, v6, s20
	v_mul_lo_u32 v4, v6, s21
	s_andn2_b64 vcc, exec, s[36:37]
	v_mul_lo_u32 v6, v6, s11
	s_cbranch_vccnz .LBB20_2
; %bb.12:                               ;   in Loop: Header=BB20_3 Depth=1
	v_mul_hi_u32 v7, s4, v5
	v_add_u32_e32 v7, v5, v7
	v_lshrrev_b32_e32 v7, s10, v7
	v_mul_lo_u32 v7, v7, s8
	v_sub_u32_e32 v5, v5, v7
	v_mad_u64_u32 v[10:11], s[50:51], v5, s23, v[0:1]
	v_mad_u64_u32 v[6:7], s[50:51], v5, s34, v[6:7]
	;; [unrolled: 1-line block ×3, first 2 shown]
	v_mov_b32_e32 v0, v10
	s_branch .LBB20_2
.LBB20_13:
	s_endpgm
	.section	.rodata,"a",@progbits
	.p2align	6, 0x0
	.amdhsa_kernel _ZN2at6native12cross_kernelIN3c108BFloat16E16OffsetCalculatorILi3EjLb0EElEEviPT_PKS6_S9_T0_T1_SB_SB_
		.amdhsa_group_segment_fixed_size 0
		.amdhsa_private_segment_fixed_size 0
		.amdhsa_kernarg_size 704
		.amdhsa_user_sgpr_count 2
		.amdhsa_user_sgpr_dispatch_ptr 0
		.amdhsa_user_sgpr_queue_ptr 0
		.amdhsa_user_sgpr_kernarg_segment_ptr 1
		.amdhsa_user_sgpr_dispatch_id 0
		.amdhsa_user_sgpr_kernarg_preload_length 0
		.amdhsa_user_sgpr_kernarg_preload_offset 0
		.amdhsa_user_sgpr_private_segment_size 0
		.amdhsa_uses_dynamic_stack 0
		.amdhsa_enable_private_segment 0
		.amdhsa_system_sgpr_workgroup_id_x 1
		.amdhsa_system_sgpr_workgroup_id_y 0
		.amdhsa_system_sgpr_workgroup_id_z 0
		.amdhsa_system_sgpr_workgroup_info 0
		.amdhsa_system_vgpr_workitem_id 0
		.amdhsa_next_free_vgpr 23
		.amdhsa_next_free_sgpr 66
		.amdhsa_accum_offset 24
		.amdhsa_reserve_vcc 1
		.amdhsa_float_round_mode_32 0
		.amdhsa_float_round_mode_16_64 0
		.amdhsa_float_denorm_mode_32 3
		.amdhsa_float_denorm_mode_16_64 3
		.amdhsa_dx10_clamp 1
		.amdhsa_ieee_mode 1
		.amdhsa_fp16_overflow 0
		.amdhsa_tg_split 0
		.amdhsa_exception_fp_ieee_invalid_op 0
		.amdhsa_exception_fp_denorm_src 0
		.amdhsa_exception_fp_ieee_div_zero 0
		.amdhsa_exception_fp_ieee_overflow 0
		.amdhsa_exception_fp_ieee_underflow 0
		.amdhsa_exception_fp_ieee_inexact 0
		.amdhsa_exception_int_div_zero 0
	.end_amdhsa_kernel
	.section	.text._ZN2at6native12cross_kernelIN3c108BFloat16E16OffsetCalculatorILi3EjLb0EElEEviPT_PKS6_S9_T0_T1_SB_SB_,"axG",@progbits,_ZN2at6native12cross_kernelIN3c108BFloat16E16OffsetCalculatorILi3EjLb0EElEEviPT_PKS6_S9_T0_T1_SB_SB_,comdat
.Lfunc_end20:
	.size	_ZN2at6native12cross_kernelIN3c108BFloat16E16OffsetCalculatorILi3EjLb0EElEEviPT_PKS6_S9_T0_T1_SB_SB_, .Lfunc_end20-_ZN2at6native12cross_kernelIN3c108BFloat16E16OffsetCalculatorILi3EjLb0EElEEviPT_PKS6_S9_T0_T1_SB_SB_
                                        ; -- End function
	.section	.AMDGPU.csdata,"",@progbits
; Kernel info:
; codeLenInByte = 1304
; NumSgprs: 72
; NumVgprs: 23
; NumAgprs: 0
; TotalNumVgprs: 23
; ScratchSize: 0
; MemoryBound: 0
; FloatMode: 240
; IeeeMode: 1
; LDSByteSize: 0 bytes/workgroup (compile time only)
; SGPRBlocks: 8
; VGPRBlocks: 2
; NumSGPRsForWavesPerEU: 72
; NumVGPRsForWavesPerEU: 23
; AccumOffset: 24
; Occupancy: 8
; WaveLimiterHint : 1
; COMPUTE_PGM_RSRC2:SCRATCH_EN: 0
; COMPUTE_PGM_RSRC2:USER_SGPR: 2
; COMPUTE_PGM_RSRC2:TRAP_HANDLER: 0
; COMPUTE_PGM_RSRC2:TGID_X_EN: 1
; COMPUTE_PGM_RSRC2:TGID_Y_EN: 0
; COMPUTE_PGM_RSRC2:TGID_Z_EN: 0
; COMPUTE_PGM_RSRC2:TIDIG_COMP_CNT: 0
; COMPUTE_PGM_RSRC3_GFX90A:ACCUM_OFFSET: 5
; COMPUTE_PGM_RSRC3_GFX90A:TG_SPLIT: 0
	.section	.text._ZN2at6native12cross_kernelIN3c108BFloat16E16OffsetCalculatorILi3EjLb0EEiEEviPT_PKS6_S9_T0_T1_SB_SB_,"axG",@progbits,_ZN2at6native12cross_kernelIN3c108BFloat16E16OffsetCalculatorILi3EjLb0EEiEEviPT_PKS6_S9_T0_T1_SB_SB_,comdat
	.protected	_ZN2at6native12cross_kernelIN3c108BFloat16E16OffsetCalculatorILi3EjLb0EEiEEviPT_PKS6_S9_T0_T1_SB_SB_ ; -- Begin function _ZN2at6native12cross_kernelIN3c108BFloat16E16OffsetCalculatorILi3EjLb0EEiEEviPT_PKS6_S9_T0_T1_SB_SB_
	.globl	_ZN2at6native12cross_kernelIN3c108BFloat16E16OffsetCalculatorILi3EjLb0EEiEEviPT_PKS6_S9_T0_T1_SB_SB_
	.p2align	8
	.type	_ZN2at6native12cross_kernelIN3c108BFloat16E16OffsetCalculatorILi3EjLb0EEiEEviPT_PKS6_S9_T0_T1_SB_SB_,@function
_ZN2at6native12cross_kernelIN3c108BFloat16E16OffsetCalculatorILi3EjLb0EEiEEviPT_PKS6_S9_T0_T1_SB_SB_: ; @_ZN2at6native12cross_kernelIN3c108BFloat16E16OffsetCalculatorILi3EjLb0EEiEEviPT_PKS6_S9_T0_T1_SB_SB_
; %bb.0:
	s_load_dword s24, s[0:1], 0x0
	s_load_dword s3, s[0:1], 0x1bc
	v_mov_b32_e32 v1, 0
	v_mov_b32_e32 v2, s2
	s_waitcnt lgkmcnt(0)
	s_ashr_i32 s25, s24, 31
	s_add_u32 s20, s0, 0x1b0
	s_addc_u32 s21, s1, 0
	s_and_b32 s28, s3, 0xffff
	v_mad_u64_u32 v[2:3], s[2:3], s28, v2, v[0:1]
	v_cmp_gt_i64_e32 vcc, s[24:25], v[2:3]
	s_and_saveexec_b64 s[2:3], vcc
	s_cbranch_execz .LBB21_13
; %bb.1:
	s_load_dwordx8 s[4:11], s[0:1], 0x20
	s_load_dwordx4 s[12:15], s[0:1], 0x8
	s_load_dwordx2 s[2:3], s[0:1], 0x18
	s_load_dwordx4 s[16:19], s[0:1], 0x1a4
	s_waitcnt lgkmcnt(0)
	s_load_dword s19, s[20:21], 0x0
	s_add_i32 s11, s4, -1
	s_cmp_gt_u32 s11, 1
	s_cselect_b64 s[26:27], -1, 0
	s_cmp_lg_u32 s4, 0
	s_cselect_b64 s[30:31], -1, 0
	s_min_u32 s33, s11, 15
	s_cmp_gt_u32 s4, 1
	s_cselect_b64 s[36:37], -1, 0
	s_mov_b32 s4, s9
	s_lshl_b32 s40, s18, 1
	s_add_i32 s9, s33, 1
	s_ashr_i32 s39, s17, 31
	s_mov_b32 s38, s17
	s_ashr_i32 s41, s40, 31
	s_ashr_i32 s17, s16, 31
	s_and_b32 s9, s9, 30
	s_bitcmp0_b32 s33, 0
                                        ; kill: killed $sgpr20 killed $sgpr21
	s_load_dwordx4 s[20:23], s[0:1], 0xe4
	s_load_dwordx2 s[34:35], s[0:1], 0xf4
	s_waitcnt lgkmcnt(0)
	s_mul_i32 s28, s19, s28
	s_cselect_b64 s[42:43], -1, 0
	s_ashr_i32 s19, s18, 31
	s_lshl_b64 s[44:45], s[38:39], 1
	s_lshl_b64 s[46:47], s[18:19], 1
	s_sub_u32 s46, 0, s46
	s_subb_u32 s47, 0, s47
	s_lshl_b64 s[48:49], s[16:17], 1
	s_add_u32 s0, s0, 12
	s_mov_b32 s29, 0
	s_mov_b32 s11, s21
	s_mov_b32 s21, s22
	s_mov_b64 s[18:19], 0
	s_addc_u32 s1, s1, 0
	s_movk_i32 s22, 0x7fff
	v_mov_b32_e32 v8, 0x7fc00000
	v_mov_b32_e32 v9, 0x7fc0
	s_branch .LBB21_3
.LBB21_2:                               ;   in Loop: Header=BB21_3 Depth=1
	v_mov_b32_e32 v7, v1
	v_mov_b32_e32 v5, v1
	v_lshl_add_u64 v[6:7], v[6:7], 1, s[14:15]
	v_lshl_add_u64 v[4:5], v[4:5], 1, s[2:3]
	;; [unrolled: 1-line block ×5, first 2 shown]
	global_load_ushort v16, v[4:5], off
	global_load_ushort v17, v[6:7], off
	;; [unrolled: 1-line block ×5, first 2 shown]
	v_lshl_add_u64 v[4:5], v[10:11], 0, s[44:45]
	global_load_ushort v21, v[4:5], off
	v_lshl_add_u64 v[2:3], v[2:3], 0, s[28:29]
	v_lshl_add_u64 v[4:5], v[0:1], 1, s[12:13]
	v_cmp_le_i64_e32 vcc, s[24:25], v[2:3]
	s_or_b64 s[18:19], vcc, s[18:19]
	v_lshl_add_u64 v[6:7], s[16:17], 1, v[4:5]
	v_lshl_add_u64 v[10:11], v[6:7], 0, s[48:49]
	s_waitcnt vmcnt(5)
	v_lshlrev_b32_e32 v13, 16, v16
	s_waitcnt vmcnt(4)
	v_lshlrev_b32_e32 v12, 16, v17
	;; [unrolled: 2-line block ×5, first 2 shown]
	v_mov_b32_e32 v18, v15
	s_waitcnt vmcnt(0)
	v_lshlrev_b32_e32 v17, 16, v21
	v_mov_b32_e32 v19, v14
	v_pk_mul_f32 v[20:21], v[16:17], v[12:13]
	v_pk_mul_f32 v[12:13], v[14:15], v[12:13]
	;; [unrolled: 1-line block ×3, first 2 shown]
	v_bfe_u32 v16, v20, 16, 1
	v_bfe_u32 v0, v21, 16, 1
	v_add3_u32 v16, v20, v16, s22
	v_bfe_u32 v18, v13, 16, 1
	v_add3_u32 v0, v21, v0, s22
	v_and_b32_e32 v16, 0xffff0000, v16
	v_cmp_o_f32_e32 vcc, v20, v20
	v_bfe_u32 v17, v12, 16, 1
	v_add3_u32 v18, v13, v18, s22
	v_and_b32_e32 v0, 0xffff0000, v0
	v_cndmask_b32_e32 v16, v8, v16, vcc
	v_cmp_o_f32_e32 vcc, v21, v21
	v_bfe_u32 v22, v15, 16, 1
	v_add3_u32 v17, v12, v17, s22
	v_and_b32_e32 v18, 0xffff0000, v18
	v_cndmask_b32_e32 v0, v8, v0, vcc
	;; [unrolled: 5-line block ×3, first 2 shown]
	v_cmp_o_f32_e32 vcc, v12, v12
	v_add3_u32 v19, v14, v19, s22
	v_and_b32_e32 v22, 0xffff0000, v22
	v_cndmask_b32_e32 v12, v8, v17, vcc
	v_cmp_o_f32_e32 vcc, v15, v15
	v_and_b32_e32 v19, 0xffff0000, v19
	v_sub_f32_e32 v0, v0, v16
	v_cndmask_b32_e32 v15, v8, v22, vcc
	v_cmp_o_f32_e32 vcc, v14, v14
	v_sub_f32_e32 v12, v12, v13
	s_nop 0
	v_cndmask_b32_e32 v14, v8, v19, vcc
	v_sub_f32_e32 v13, v14, v15
	v_bfe_u32 v14, v0, 16, 1
	v_bfe_u32 v15, v12, 16, 1
	v_add3_u32 v14, v0, v14, s22
	v_bfe_u32 v16, v13, 16, 1
	v_add3_u32 v15, v12, v15, s22
	v_lshrrev_b32_e32 v14, 16, v14
	v_cmp_o_f32_e32 vcc, v0, v0
	v_add3_u32 v16, v13, v16, s22
	v_lshrrev_b32_e32 v15, 16, v15
	v_cndmask_b32_e32 v0, v9, v14, vcc
	v_cmp_o_f32_e32 vcc, v12, v12
	v_lshrrev_b32_e32 v16, 16, v16
	s_nop 0
	v_cndmask_b32_e32 v12, v9, v15, vcc
	v_cmp_o_f32_e32 vcc, v13, v13
	s_nop 1
	v_cndmask_b32_e32 v13, v9, v16, vcc
	global_store_short v[4:5], v13, off
	global_store_short v[6:7], v0, off
	;; [unrolled: 1-line block ×3, first 2 shown]
	s_andn2_b64 exec, exec, s[18:19]
	s_cbranch_execz .LBB21_13
.LBB21_3:                               ; =>This Loop Header: Depth=1
                                        ;     Child Loop BB21_6 Depth 2
	s_andn2_b64 vcc, exec, s[26:27]
	s_cbranch_vccnz .LBB21_10
; %bb.4:                                ;   in Loop: Header=BB21_3 Depth=1
	s_andn2_b64 vcc, exec, s[30:31]
	v_mov_b32_e32 v4, 0
	v_mov_b32_e32 v6, 0
	;; [unrolled: 1-line block ×3, first 2 shown]
	s_cbranch_vccnz .LBB21_9
; %bb.5:                                ;   in Loop: Header=BB21_3 Depth=1
	v_mov_b32_e32 v0, 0
	s_mov_b32 s33, s9
	s_mov_b64 s[50:51], s[0:1]
	v_mov_b32_e32 v5, v2
	v_mov_b32_e32 v6, v0
	;; [unrolled: 1-line block ×3, first 2 shown]
.LBB21_6:                               ;   Parent Loop BB21_3 Depth=1
                                        ; =>  This Inner Loop Header: Depth=2
	s_mov_b64 s[60:61], s[50:51]
	s_load_dwordx4 s[52:55], s[60:61], 0x18
	s_load_dwordx2 s[62:63], s[60:61], 0x28
	s_load_dwordx2 s[64:65], s[60:61], 0xe8
	s_load_dwordx4 s[56:59], s[60:61], 0xd8
	s_add_u32 s50, s60, 24
	s_waitcnt lgkmcnt(0)
	v_mul_hi_u32 v7, s53, v5
	v_add_u32_e32 v7, v5, v7
	v_lshrrev_b32_e32 v7, s54, v7
	v_mul_lo_u32 v10, v7, s52
	v_mul_hi_u32 v11, s62, v7
	v_sub_u32_e32 v5, v5, v10
	v_add_u32_e32 v10, v7, v11
	v_mul_lo_u32 v11, v5, s56
	v_mul_lo_u32 v12, v5, s57
	;; [unrolled: 1-line block ×3, first 2 shown]
	v_lshrrev_b32_e32 v5, s63, v10
	v_mul_lo_u32 v10, v5, s55
	v_sub_u32_e32 v7, v7, v10
	s_addc_u32 s51, s61, 0
	s_add_i32 s33, s33, -2
	v_mul_lo_u32 v10, v7, s59
	v_mul_lo_u32 v14, v7, s64
	;; [unrolled: 1-line block ×3, first 2 shown]
	s_cmp_lg_u32 s33, 0
	v_add3_u32 v0, v11, v0, v10
	v_add3_u32 v4, v13, v4, v7
	v_add3_u32 v6, v12, v6, v14
	s_cbranch_scc1 .LBB21_6
; %bb.7:                                ;   in Loop: Header=BB21_3 Depth=1
	s_andn2_b64 vcc, exec, s[42:43]
	s_cbranch_vccnz .LBB21_9
; %bb.8:                                ;   in Loop: Header=BB21_3 Depth=1
	s_load_dwordx2 s[52:53], s[50:51], 0x18
	s_load_dword s33, s[50:51], 0x20
	s_load_dword s54, s[50:51], 0xe0
	s_nop 0
	s_load_dwordx2 s[50:51], s[50:51], 0xd8
	s_waitcnt lgkmcnt(0)
	v_mul_hi_u32 v7, s53, v5
	v_add_u32_e32 v7, v5, v7
	v_lshrrev_b32_e32 v7, s33, v7
	v_mul_lo_u32 v7, v7, s52
	v_sub_u32_e32 v5, v5, v7
	v_mad_u64_u32 v[10:11], s[52:53], v5, s50, v[0:1]
	v_mad_u64_u32 v[6:7], s[50:51], v5, s51, v[6:7]
	;; [unrolled: 1-line block ×3, first 2 shown]
	v_mov_b32_e32 v0, v10
.LBB21_9:                               ;   in Loop: Header=BB21_3 Depth=1
	s_cbranch_execnz .LBB21_2
	s_branch .LBB21_11
.LBB21_10:                              ;   in Loop: Header=BB21_3 Depth=1
                                        ; implicit-def: $vgpr4
                                        ; implicit-def: $vgpr6
.LBB21_11:                              ;   in Loop: Header=BB21_3 Depth=1
	v_mul_hi_u32 v0, v2, s6
	v_add_u32_e32 v0, v0, v2
	v_lshrrev_b32_e32 v5, s7, v0
	v_mul_lo_u32 v0, v5, s5
	v_sub_u32_e32 v6, v2, v0
	v_mul_lo_u32 v0, v6, s20
	v_mul_lo_u32 v4, v6, s21
	s_andn2_b64 vcc, exec, s[36:37]
	v_mul_lo_u32 v6, v6, s11
	s_cbranch_vccnz .LBB21_2
; %bb.12:                               ;   in Loop: Header=BB21_3 Depth=1
	v_mul_hi_u32 v7, s4, v5
	v_add_u32_e32 v7, v5, v7
	v_lshrrev_b32_e32 v7, s10, v7
	v_mul_lo_u32 v7, v7, s8
	v_sub_u32_e32 v5, v5, v7
	v_mad_u64_u32 v[10:11], s[50:51], v5, s23, v[0:1]
	v_mad_u64_u32 v[6:7], s[50:51], v5, s34, v[6:7]
	;; [unrolled: 1-line block ×3, first 2 shown]
	v_mov_b32_e32 v0, v10
	s_branch .LBB21_2
.LBB21_13:
	s_endpgm
	.section	.rodata,"a",@progbits
	.p2align	6, 0x0
	.amdhsa_kernel _ZN2at6native12cross_kernelIN3c108BFloat16E16OffsetCalculatorILi3EjLb0EEiEEviPT_PKS6_S9_T0_T1_SB_SB_
		.amdhsa_group_segment_fixed_size 0
		.amdhsa_private_segment_fixed_size 0
		.amdhsa_kernarg_size 688
		.amdhsa_user_sgpr_count 2
		.amdhsa_user_sgpr_dispatch_ptr 0
		.amdhsa_user_sgpr_queue_ptr 0
		.amdhsa_user_sgpr_kernarg_segment_ptr 1
		.amdhsa_user_sgpr_dispatch_id 0
		.amdhsa_user_sgpr_kernarg_preload_length 0
		.amdhsa_user_sgpr_kernarg_preload_offset 0
		.amdhsa_user_sgpr_private_segment_size 0
		.amdhsa_uses_dynamic_stack 0
		.amdhsa_enable_private_segment 0
		.amdhsa_system_sgpr_workgroup_id_x 1
		.amdhsa_system_sgpr_workgroup_id_y 0
		.amdhsa_system_sgpr_workgroup_id_z 0
		.amdhsa_system_sgpr_workgroup_info 0
		.amdhsa_system_vgpr_workitem_id 0
		.amdhsa_next_free_vgpr 23
		.amdhsa_next_free_sgpr 66
		.amdhsa_accum_offset 24
		.amdhsa_reserve_vcc 1
		.amdhsa_float_round_mode_32 0
		.amdhsa_float_round_mode_16_64 0
		.amdhsa_float_denorm_mode_32 3
		.amdhsa_float_denorm_mode_16_64 3
		.amdhsa_dx10_clamp 1
		.amdhsa_ieee_mode 1
		.amdhsa_fp16_overflow 0
		.amdhsa_tg_split 0
		.amdhsa_exception_fp_ieee_invalid_op 0
		.amdhsa_exception_fp_denorm_src 0
		.amdhsa_exception_fp_ieee_div_zero 0
		.amdhsa_exception_fp_ieee_overflow 0
		.amdhsa_exception_fp_ieee_underflow 0
		.amdhsa_exception_fp_ieee_inexact 0
		.amdhsa_exception_int_div_zero 0
	.end_amdhsa_kernel
	.section	.text._ZN2at6native12cross_kernelIN3c108BFloat16E16OffsetCalculatorILi3EjLb0EEiEEviPT_PKS6_S9_T0_T1_SB_SB_,"axG",@progbits,_ZN2at6native12cross_kernelIN3c108BFloat16E16OffsetCalculatorILi3EjLb0EEiEEviPT_PKS6_S9_T0_T1_SB_SB_,comdat
.Lfunc_end21:
	.size	_ZN2at6native12cross_kernelIN3c108BFloat16E16OffsetCalculatorILi3EjLb0EEiEEviPT_PKS6_S9_T0_T1_SB_SB_, .Lfunc_end21-_ZN2at6native12cross_kernelIN3c108BFloat16E16OffsetCalculatorILi3EjLb0EEiEEviPT_PKS6_S9_T0_T1_SB_SB_
                                        ; -- End function
	.section	.AMDGPU.csdata,"",@progbits
; Kernel info:
; codeLenInByte = 1316
; NumSgprs: 72
; NumVgprs: 23
; NumAgprs: 0
; TotalNumVgprs: 23
; ScratchSize: 0
; MemoryBound: 0
; FloatMode: 240
; IeeeMode: 1
; LDSByteSize: 0 bytes/workgroup (compile time only)
; SGPRBlocks: 8
; VGPRBlocks: 2
; NumSGPRsForWavesPerEU: 72
; NumVGPRsForWavesPerEU: 23
; AccumOffset: 24
; Occupancy: 8
; WaveLimiterHint : 1
; COMPUTE_PGM_RSRC2:SCRATCH_EN: 0
; COMPUTE_PGM_RSRC2:USER_SGPR: 2
; COMPUTE_PGM_RSRC2:TRAP_HANDLER: 0
; COMPUTE_PGM_RSRC2:TGID_X_EN: 1
; COMPUTE_PGM_RSRC2:TGID_Y_EN: 0
; COMPUTE_PGM_RSRC2:TGID_Z_EN: 0
; COMPUTE_PGM_RSRC2:TIDIG_COMP_CNT: 0
; COMPUTE_PGM_RSRC3_GFX90A:ACCUM_OFFSET: 5
; COMPUTE_PGM_RSRC3_GFX90A:TG_SPLIT: 0
	.text
	.p2alignl 6, 3212836864
	.fill 256, 4, 3212836864
	.type	__hip_cuid_d4af5de8c3d7a95a,@object ; @__hip_cuid_d4af5de8c3d7a95a
	.section	.bss,"aw",@nobits
	.globl	__hip_cuid_d4af5de8c3d7a95a
__hip_cuid_d4af5de8c3d7a95a:
	.byte	0                               ; 0x0
	.size	__hip_cuid_d4af5de8c3d7a95a, 1

	.ident	"AMD clang version 19.0.0git (https://github.com/RadeonOpenCompute/llvm-project roc-6.4.0 25133 c7fe45cf4b819c5991fe208aaa96edf142730f1d)"
	.section	".note.GNU-stack","",@progbits
	.addrsig
	.addrsig_sym __hip_cuid_d4af5de8c3d7a95a
	.amdgpu_metadata
---
amdhsa.kernels:
  - .agpr_count:     0
    .args:
      - .offset:         0
        .size:           4
        .value_kind:     by_value
      - .address_space:  global
        .offset:         8
        .size:           8
        .value_kind:     global_buffer
      - .address_space:  global
        .offset:         16
        .size:           8
        .value_kind:     global_buffer
      - .address_space:  global
        .offset:         24
        .size:           8
        .value_kind:     global_buffer
      - .offset:         32
        .size:           388
        .value_kind:     by_value
      - .offset:         424
        .size:           8
        .value_kind:     by_value
      - .offset:         432
        .size:           8
        .value_kind:     by_value
      - .offset:         440
        .size:           8
        .value_kind:     by_value
      - .offset:         448
        .size:           4
        .value_kind:     hidden_block_count_x
      - .offset:         452
        .size:           4
        .value_kind:     hidden_block_count_y
      - .offset:         456
        .size:           4
        .value_kind:     hidden_block_count_z
      - .offset:         460
        .size:           2
        .value_kind:     hidden_group_size_x
      - .offset:         462
        .size:           2
        .value_kind:     hidden_group_size_y
      - .offset:         464
        .size:           2
        .value_kind:     hidden_group_size_z
      - .offset:         466
        .size:           2
        .value_kind:     hidden_remainder_x
      - .offset:         468
        .size:           2
        .value_kind:     hidden_remainder_y
      - .offset:         470
        .size:           2
        .value_kind:     hidden_remainder_z
      - .offset:         488
        .size:           8
        .value_kind:     hidden_global_offset_x
      - .offset:         496
        .size:           8
        .value_kind:     hidden_global_offset_y
      - .offset:         504
        .size:           8
        .value_kind:     hidden_global_offset_z
      - .offset:         512
        .size:           2
        .value_kind:     hidden_grid_dims
    .group_segment_fixed_size: 0
    .kernarg_segment_align: 8
    .kernarg_segment_size: 704
    .language:       OpenCL C
    .language_version:
      - 2
      - 0
    .max_flat_workgroup_size: 1024
    .name:           _ZN2at6native12cross_kernelIh16OffsetCalculatorILi3EjLb0EElEEviPT_PKS4_S7_T0_T1_S9_S9_
    .private_segment_fixed_size: 0
    .sgpr_count:     68
    .sgpr_spill_count: 0
    .symbol:         _ZN2at6native12cross_kernelIh16OffsetCalculatorILi3EjLb0EElEEviPT_PKS4_S7_T0_T1_S9_S9_.kd
    .uniform_work_group_size: 1
    .uses_dynamic_stack: false
    .vgpr_count:     18
    .vgpr_spill_count: 0
    .wavefront_size: 64
  - .agpr_count:     0
    .args:
      - .offset:         0
        .size:           4
        .value_kind:     by_value
      - .address_space:  global
        .offset:         8
        .size:           8
        .value_kind:     global_buffer
      - .address_space:  global
        .offset:         16
        .size:           8
        .value_kind:     global_buffer
      - .address_space:  global
        .offset:         24
        .size:           8
        .value_kind:     global_buffer
      - .offset:         32
        .size:           388
        .value_kind:     by_value
      - .offset:         420
        .size:           4
        .value_kind:     by_value
      - .offset:         424
        .size:           4
        .value_kind:     by_value
      - .offset:         428
        .size:           4
        .value_kind:     by_value
      - .offset:         432
        .size:           4
        .value_kind:     hidden_block_count_x
      - .offset:         436
        .size:           4
        .value_kind:     hidden_block_count_y
      - .offset:         440
        .size:           4
        .value_kind:     hidden_block_count_z
      - .offset:         444
        .size:           2
        .value_kind:     hidden_group_size_x
      - .offset:         446
        .size:           2
        .value_kind:     hidden_group_size_y
      - .offset:         448
        .size:           2
        .value_kind:     hidden_group_size_z
      - .offset:         450
        .size:           2
        .value_kind:     hidden_remainder_x
      - .offset:         452
        .size:           2
        .value_kind:     hidden_remainder_y
      - .offset:         454
        .size:           2
        .value_kind:     hidden_remainder_z
      - .offset:         472
        .size:           8
        .value_kind:     hidden_global_offset_x
      - .offset:         480
        .size:           8
        .value_kind:     hidden_global_offset_y
      - .offset:         488
        .size:           8
        .value_kind:     hidden_global_offset_z
      - .offset:         496
        .size:           2
        .value_kind:     hidden_grid_dims
    .group_segment_fixed_size: 0
    .kernarg_segment_align: 8
    .kernarg_segment_size: 688
    .language:       OpenCL C
    .language_version:
      - 2
      - 0
    .max_flat_workgroup_size: 1024
    .name:           _ZN2at6native12cross_kernelIh16OffsetCalculatorILi3EjLb0EEiEEviPT_PKS4_S7_T0_T1_S9_S9_
    .private_segment_fixed_size: 0
    .sgpr_count:     68
    .sgpr_spill_count: 0
    .symbol:         _ZN2at6native12cross_kernelIh16OffsetCalculatorILi3EjLb0EEiEEviPT_PKS4_S7_T0_T1_S9_S9_.kd
    .uniform_work_group_size: 1
    .uses_dynamic_stack: false
    .vgpr_count:     18
    .vgpr_spill_count: 0
    .wavefront_size: 64
  - .agpr_count:     0
    .args:
      - .offset:         0
        .size:           4
        .value_kind:     by_value
      - .address_space:  global
        .offset:         8
        .size:           8
        .value_kind:     global_buffer
      - .address_space:  global
        .offset:         16
        .size:           8
        .value_kind:     global_buffer
      - .address_space:  global
        .offset:         24
        .size:           8
        .value_kind:     global_buffer
      - .offset:         32
        .size:           388
        .value_kind:     by_value
      - .offset:         424
        .size:           8
        .value_kind:     by_value
      - .offset:         432
        .size:           8
        .value_kind:     by_value
      - .offset:         440
        .size:           8
        .value_kind:     by_value
      - .offset:         448
        .size:           4
        .value_kind:     hidden_block_count_x
      - .offset:         452
        .size:           4
        .value_kind:     hidden_block_count_y
      - .offset:         456
        .size:           4
        .value_kind:     hidden_block_count_z
      - .offset:         460
        .size:           2
        .value_kind:     hidden_group_size_x
      - .offset:         462
        .size:           2
        .value_kind:     hidden_group_size_y
      - .offset:         464
        .size:           2
        .value_kind:     hidden_group_size_z
      - .offset:         466
        .size:           2
        .value_kind:     hidden_remainder_x
      - .offset:         468
        .size:           2
        .value_kind:     hidden_remainder_y
      - .offset:         470
        .size:           2
        .value_kind:     hidden_remainder_z
      - .offset:         488
        .size:           8
        .value_kind:     hidden_global_offset_x
      - .offset:         496
        .size:           8
        .value_kind:     hidden_global_offset_y
      - .offset:         504
        .size:           8
        .value_kind:     hidden_global_offset_z
      - .offset:         512
        .size:           2
        .value_kind:     hidden_grid_dims
    .group_segment_fixed_size: 0
    .kernarg_segment_align: 8
    .kernarg_segment_size: 704
    .language:       OpenCL C
    .language_version:
      - 2
      - 0
    .max_flat_workgroup_size: 1024
    .name:           _ZN2at6native12cross_kernelIa16OffsetCalculatorILi3EjLb0EElEEviPT_PKS4_S7_T0_T1_S9_S9_
    .private_segment_fixed_size: 0
    .sgpr_count:     68
    .sgpr_spill_count: 0
    .symbol:         _ZN2at6native12cross_kernelIa16OffsetCalculatorILi3EjLb0EElEEviPT_PKS4_S7_T0_T1_S9_S9_.kd
    .uniform_work_group_size: 1
    .uses_dynamic_stack: false
    .vgpr_count:     18
    .vgpr_spill_count: 0
    .wavefront_size: 64
  - .agpr_count:     0
    .args:
      - .offset:         0
        .size:           4
        .value_kind:     by_value
      - .address_space:  global
        .offset:         8
        .size:           8
        .value_kind:     global_buffer
      - .address_space:  global
        .offset:         16
        .size:           8
        .value_kind:     global_buffer
      - .address_space:  global
        .offset:         24
        .size:           8
        .value_kind:     global_buffer
      - .offset:         32
        .size:           388
        .value_kind:     by_value
      - .offset:         420
        .size:           4
        .value_kind:     by_value
      - .offset:         424
        .size:           4
        .value_kind:     by_value
      - .offset:         428
        .size:           4
        .value_kind:     by_value
      - .offset:         432
        .size:           4
        .value_kind:     hidden_block_count_x
      - .offset:         436
        .size:           4
        .value_kind:     hidden_block_count_y
      - .offset:         440
        .size:           4
        .value_kind:     hidden_block_count_z
      - .offset:         444
        .size:           2
        .value_kind:     hidden_group_size_x
      - .offset:         446
        .size:           2
        .value_kind:     hidden_group_size_y
      - .offset:         448
        .size:           2
        .value_kind:     hidden_group_size_z
      - .offset:         450
        .size:           2
        .value_kind:     hidden_remainder_x
      - .offset:         452
        .size:           2
        .value_kind:     hidden_remainder_y
      - .offset:         454
        .size:           2
        .value_kind:     hidden_remainder_z
      - .offset:         472
        .size:           8
        .value_kind:     hidden_global_offset_x
      - .offset:         480
        .size:           8
        .value_kind:     hidden_global_offset_y
      - .offset:         488
        .size:           8
        .value_kind:     hidden_global_offset_z
      - .offset:         496
        .size:           2
        .value_kind:     hidden_grid_dims
    .group_segment_fixed_size: 0
    .kernarg_segment_align: 8
    .kernarg_segment_size: 688
    .language:       OpenCL C
    .language_version:
      - 2
      - 0
    .max_flat_workgroup_size: 1024
    .name:           _ZN2at6native12cross_kernelIa16OffsetCalculatorILi3EjLb0EEiEEviPT_PKS4_S7_T0_T1_S9_S9_
    .private_segment_fixed_size: 0
    .sgpr_count:     68
    .sgpr_spill_count: 0
    .symbol:         _ZN2at6native12cross_kernelIa16OffsetCalculatorILi3EjLb0EEiEEviPT_PKS4_S7_T0_T1_S9_S9_.kd
    .uniform_work_group_size: 1
    .uses_dynamic_stack: false
    .vgpr_count:     18
    .vgpr_spill_count: 0
    .wavefront_size: 64
  - .agpr_count:     0
    .args:
      - .offset:         0
        .size:           4
        .value_kind:     by_value
      - .address_space:  global
        .offset:         8
        .size:           8
        .value_kind:     global_buffer
      - .address_space:  global
        .offset:         16
        .size:           8
        .value_kind:     global_buffer
      - .address_space:  global
        .offset:         24
        .size:           8
        .value_kind:     global_buffer
      - .offset:         32
        .size:           388
        .value_kind:     by_value
      - .offset:         424
        .size:           8
        .value_kind:     by_value
      - .offset:         432
        .size:           8
        .value_kind:     by_value
      - .offset:         440
        .size:           8
        .value_kind:     by_value
      - .offset:         448
        .size:           4
        .value_kind:     hidden_block_count_x
      - .offset:         452
        .size:           4
        .value_kind:     hidden_block_count_y
      - .offset:         456
        .size:           4
        .value_kind:     hidden_block_count_z
      - .offset:         460
        .size:           2
        .value_kind:     hidden_group_size_x
      - .offset:         462
        .size:           2
        .value_kind:     hidden_group_size_y
      - .offset:         464
        .size:           2
        .value_kind:     hidden_group_size_z
      - .offset:         466
        .size:           2
        .value_kind:     hidden_remainder_x
      - .offset:         468
        .size:           2
        .value_kind:     hidden_remainder_y
      - .offset:         470
        .size:           2
        .value_kind:     hidden_remainder_z
      - .offset:         488
        .size:           8
        .value_kind:     hidden_global_offset_x
      - .offset:         496
        .size:           8
        .value_kind:     hidden_global_offset_y
      - .offset:         504
        .size:           8
        .value_kind:     hidden_global_offset_z
      - .offset:         512
        .size:           2
        .value_kind:     hidden_grid_dims
    .group_segment_fixed_size: 0
    .kernarg_segment_align: 8
    .kernarg_segment_size: 704
    .language:       OpenCL C
    .language_version:
      - 2
      - 0
    .max_flat_workgroup_size: 1024
    .name:           _ZN2at6native12cross_kernelIi16OffsetCalculatorILi3EjLb0EElEEviPT_PKS4_S7_T0_T1_S9_S9_
    .private_segment_fixed_size: 0
    .sgpr_count:     72
    .sgpr_spill_count: 0
    .symbol:         _ZN2at6native12cross_kernelIi16OffsetCalculatorILi3EjLb0EElEEviPT_PKS4_S7_T0_T1_S9_S9_.kd
    .uniform_work_group_size: 1
    .uses_dynamic_stack: false
    .vgpr_count:     17
    .vgpr_spill_count: 0
    .wavefront_size: 64
  - .agpr_count:     0
    .args:
      - .offset:         0
        .size:           4
        .value_kind:     by_value
      - .address_space:  global
        .offset:         8
        .size:           8
        .value_kind:     global_buffer
      - .address_space:  global
        .offset:         16
        .size:           8
        .value_kind:     global_buffer
      - .address_space:  global
        .offset:         24
        .size:           8
        .value_kind:     global_buffer
      - .offset:         32
        .size:           388
        .value_kind:     by_value
      - .offset:         420
        .size:           4
        .value_kind:     by_value
      - .offset:         424
        .size:           4
        .value_kind:     by_value
      - .offset:         428
        .size:           4
        .value_kind:     by_value
      - .offset:         432
        .size:           4
        .value_kind:     hidden_block_count_x
      - .offset:         436
        .size:           4
        .value_kind:     hidden_block_count_y
      - .offset:         440
        .size:           4
        .value_kind:     hidden_block_count_z
      - .offset:         444
        .size:           2
        .value_kind:     hidden_group_size_x
      - .offset:         446
        .size:           2
        .value_kind:     hidden_group_size_y
      - .offset:         448
        .size:           2
        .value_kind:     hidden_group_size_z
      - .offset:         450
        .size:           2
        .value_kind:     hidden_remainder_x
      - .offset:         452
        .size:           2
        .value_kind:     hidden_remainder_y
      - .offset:         454
        .size:           2
        .value_kind:     hidden_remainder_z
      - .offset:         472
        .size:           8
        .value_kind:     hidden_global_offset_x
      - .offset:         480
        .size:           8
        .value_kind:     hidden_global_offset_y
      - .offset:         488
        .size:           8
        .value_kind:     hidden_global_offset_z
      - .offset:         496
        .size:           2
        .value_kind:     hidden_grid_dims
    .group_segment_fixed_size: 0
    .kernarg_segment_align: 8
    .kernarg_segment_size: 688
    .language:       OpenCL C
    .language_version:
      - 2
      - 0
    .max_flat_workgroup_size: 1024
    .name:           _ZN2at6native12cross_kernelIi16OffsetCalculatorILi3EjLb0EEiEEviPT_PKS4_S7_T0_T1_S9_S9_
    .private_segment_fixed_size: 0
    .sgpr_count:     72
    .sgpr_spill_count: 0
    .symbol:         _ZN2at6native12cross_kernelIi16OffsetCalculatorILi3EjLb0EEiEEviPT_PKS4_S7_T0_T1_S9_S9_.kd
    .uniform_work_group_size: 1
    .uses_dynamic_stack: false
    .vgpr_count:     17
    .vgpr_spill_count: 0
    .wavefront_size: 64
  - .agpr_count:     0
    .args:
      - .offset:         0
        .size:           4
        .value_kind:     by_value
      - .address_space:  global
        .offset:         8
        .size:           8
        .value_kind:     global_buffer
      - .address_space:  global
        .offset:         16
        .size:           8
        .value_kind:     global_buffer
      - .address_space:  global
        .offset:         24
        .size:           8
        .value_kind:     global_buffer
      - .offset:         32
        .size:           388
        .value_kind:     by_value
      - .offset:         424
        .size:           8
        .value_kind:     by_value
      - .offset:         432
        .size:           8
        .value_kind:     by_value
      - .offset:         440
        .size:           8
        .value_kind:     by_value
      - .offset:         448
        .size:           4
        .value_kind:     hidden_block_count_x
      - .offset:         452
        .size:           4
        .value_kind:     hidden_block_count_y
      - .offset:         456
        .size:           4
        .value_kind:     hidden_block_count_z
      - .offset:         460
        .size:           2
        .value_kind:     hidden_group_size_x
      - .offset:         462
        .size:           2
        .value_kind:     hidden_group_size_y
      - .offset:         464
        .size:           2
        .value_kind:     hidden_group_size_z
      - .offset:         466
        .size:           2
        .value_kind:     hidden_remainder_x
      - .offset:         468
        .size:           2
        .value_kind:     hidden_remainder_y
      - .offset:         470
        .size:           2
        .value_kind:     hidden_remainder_z
      - .offset:         488
        .size:           8
        .value_kind:     hidden_global_offset_x
      - .offset:         496
        .size:           8
        .value_kind:     hidden_global_offset_y
      - .offset:         504
        .size:           8
        .value_kind:     hidden_global_offset_z
      - .offset:         512
        .size:           2
        .value_kind:     hidden_grid_dims
    .group_segment_fixed_size: 0
    .kernarg_segment_align: 8
    .kernarg_segment_size: 704
    .language:       OpenCL C
    .language_version:
      - 2
      - 0
    .max_flat_workgroup_size: 1024
    .name:           _ZN2at6native12cross_kernelIl16OffsetCalculatorILi3EjLb0EElEEviPT_PKS4_S7_T0_T1_S9_S9_
    .private_segment_fixed_size: 0
    .sgpr_count:     72
    .sgpr_spill_count: 0
    .symbol:         _ZN2at6native12cross_kernelIl16OffsetCalculatorILi3EjLb0EElEEviPT_PKS4_S7_T0_T1_S9_S9_.kd
    .uniform_work_group_size: 1
    .uses_dynamic_stack: false
    .vgpr_count:     32
    .vgpr_spill_count: 0
    .wavefront_size: 64
  - .agpr_count:     0
    .args:
      - .offset:         0
        .size:           4
        .value_kind:     by_value
      - .address_space:  global
        .offset:         8
        .size:           8
        .value_kind:     global_buffer
      - .address_space:  global
        .offset:         16
        .size:           8
        .value_kind:     global_buffer
      - .address_space:  global
        .offset:         24
        .size:           8
        .value_kind:     global_buffer
      - .offset:         32
        .size:           388
        .value_kind:     by_value
      - .offset:         420
        .size:           4
        .value_kind:     by_value
      - .offset:         424
        .size:           4
        .value_kind:     by_value
      - .offset:         428
        .size:           4
        .value_kind:     by_value
      - .offset:         432
        .size:           4
        .value_kind:     hidden_block_count_x
      - .offset:         436
        .size:           4
        .value_kind:     hidden_block_count_y
      - .offset:         440
        .size:           4
        .value_kind:     hidden_block_count_z
      - .offset:         444
        .size:           2
        .value_kind:     hidden_group_size_x
      - .offset:         446
        .size:           2
        .value_kind:     hidden_group_size_y
      - .offset:         448
        .size:           2
        .value_kind:     hidden_group_size_z
      - .offset:         450
        .size:           2
        .value_kind:     hidden_remainder_x
      - .offset:         452
        .size:           2
        .value_kind:     hidden_remainder_y
      - .offset:         454
        .size:           2
        .value_kind:     hidden_remainder_z
      - .offset:         472
        .size:           8
        .value_kind:     hidden_global_offset_x
      - .offset:         480
        .size:           8
        .value_kind:     hidden_global_offset_y
      - .offset:         488
        .size:           8
        .value_kind:     hidden_global_offset_z
      - .offset:         496
        .size:           2
        .value_kind:     hidden_grid_dims
    .group_segment_fixed_size: 0
    .kernarg_segment_align: 8
    .kernarg_segment_size: 688
    .language:       OpenCL C
    .language_version:
      - 2
      - 0
    .max_flat_workgroup_size: 1024
    .name:           _ZN2at6native12cross_kernelIl16OffsetCalculatorILi3EjLb0EEiEEviPT_PKS4_S7_T0_T1_S9_S9_
    .private_segment_fixed_size: 0
    .sgpr_count:     72
    .sgpr_spill_count: 0
    .symbol:         _ZN2at6native12cross_kernelIl16OffsetCalculatorILi3EjLb0EEiEEviPT_PKS4_S7_T0_T1_S9_S9_.kd
    .uniform_work_group_size: 1
    .uses_dynamic_stack: false
    .vgpr_count:     32
    .vgpr_spill_count: 0
    .wavefront_size: 64
  - .agpr_count:     0
    .args:
      - .offset:         0
        .size:           4
        .value_kind:     by_value
      - .address_space:  global
        .offset:         8
        .size:           8
        .value_kind:     global_buffer
      - .address_space:  global
        .offset:         16
        .size:           8
        .value_kind:     global_buffer
      - .address_space:  global
        .offset:         24
        .size:           8
        .value_kind:     global_buffer
      - .offset:         32
        .size:           388
        .value_kind:     by_value
      - .offset:         424
        .size:           8
        .value_kind:     by_value
      - .offset:         432
        .size:           8
        .value_kind:     by_value
      - .offset:         440
        .size:           8
        .value_kind:     by_value
      - .offset:         448
        .size:           4
        .value_kind:     hidden_block_count_x
      - .offset:         452
        .size:           4
        .value_kind:     hidden_block_count_y
      - .offset:         456
        .size:           4
        .value_kind:     hidden_block_count_z
      - .offset:         460
        .size:           2
        .value_kind:     hidden_group_size_x
      - .offset:         462
        .size:           2
        .value_kind:     hidden_group_size_y
      - .offset:         464
        .size:           2
        .value_kind:     hidden_group_size_z
      - .offset:         466
        .size:           2
        .value_kind:     hidden_remainder_x
      - .offset:         468
        .size:           2
        .value_kind:     hidden_remainder_y
      - .offset:         470
        .size:           2
        .value_kind:     hidden_remainder_z
      - .offset:         488
        .size:           8
        .value_kind:     hidden_global_offset_x
      - .offset:         496
        .size:           8
        .value_kind:     hidden_global_offset_y
      - .offset:         504
        .size:           8
        .value_kind:     hidden_global_offset_z
      - .offset:         512
        .size:           2
        .value_kind:     hidden_grid_dims
    .group_segment_fixed_size: 0
    .kernarg_segment_align: 8
    .kernarg_segment_size: 704
    .language:       OpenCL C
    .language_version:
      - 2
      - 0
    .max_flat_workgroup_size: 1024
    .name:           _ZN2at6native12cross_kernelIs16OffsetCalculatorILi3EjLb0EElEEviPT_PKS4_S7_T0_T1_S9_S9_
    .private_segment_fixed_size: 0
    .sgpr_count:     72
    .sgpr_spill_count: 0
    .symbol:         _ZN2at6native12cross_kernelIs16OffsetCalculatorILi3EjLb0EElEEviPT_PKS4_S7_T0_T1_S9_S9_.kd
    .uniform_work_group_size: 1
    .uses_dynamic_stack: false
    .vgpr_count:     17
    .vgpr_spill_count: 0
    .wavefront_size: 64
  - .agpr_count:     0
    .args:
      - .offset:         0
        .size:           4
        .value_kind:     by_value
      - .address_space:  global
        .offset:         8
        .size:           8
        .value_kind:     global_buffer
      - .address_space:  global
        .offset:         16
        .size:           8
        .value_kind:     global_buffer
      - .address_space:  global
        .offset:         24
        .size:           8
        .value_kind:     global_buffer
      - .offset:         32
        .size:           388
        .value_kind:     by_value
      - .offset:         420
        .size:           4
        .value_kind:     by_value
      - .offset:         424
        .size:           4
        .value_kind:     by_value
      - .offset:         428
        .size:           4
        .value_kind:     by_value
      - .offset:         432
        .size:           4
        .value_kind:     hidden_block_count_x
      - .offset:         436
        .size:           4
        .value_kind:     hidden_block_count_y
      - .offset:         440
        .size:           4
        .value_kind:     hidden_block_count_z
      - .offset:         444
        .size:           2
        .value_kind:     hidden_group_size_x
      - .offset:         446
        .size:           2
        .value_kind:     hidden_group_size_y
      - .offset:         448
        .size:           2
        .value_kind:     hidden_group_size_z
      - .offset:         450
        .size:           2
        .value_kind:     hidden_remainder_x
      - .offset:         452
        .size:           2
        .value_kind:     hidden_remainder_y
      - .offset:         454
        .size:           2
        .value_kind:     hidden_remainder_z
      - .offset:         472
        .size:           8
        .value_kind:     hidden_global_offset_x
      - .offset:         480
        .size:           8
        .value_kind:     hidden_global_offset_y
      - .offset:         488
        .size:           8
        .value_kind:     hidden_global_offset_z
      - .offset:         496
        .size:           2
        .value_kind:     hidden_grid_dims
    .group_segment_fixed_size: 0
    .kernarg_segment_align: 8
    .kernarg_segment_size: 688
    .language:       OpenCL C
    .language_version:
      - 2
      - 0
    .max_flat_workgroup_size: 1024
    .name:           _ZN2at6native12cross_kernelIs16OffsetCalculatorILi3EjLb0EEiEEviPT_PKS4_S7_T0_T1_S9_S9_
    .private_segment_fixed_size: 0
    .sgpr_count:     72
    .sgpr_spill_count: 0
    .symbol:         _ZN2at6native12cross_kernelIs16OffsetCalculatorILi3EjLb0EEiEEviPT_PKS4_S7_T0_T1_S9_S9_.kd
    .uniform_work_group_size: 1
    .uses_dynamic_stack: false
    .vgpr_count:     17
    .vgpr_spill_count: 0
    .wavefront_size: 64
  - .agpr_count:     0
    .args:
      - .offset:         0
        .size:           4
        .value_kind:     by_value
      - .address_space:  global
        .offset:         8
        .size:           8
        .value_kind:     global_buffer
      - .address_space:  global
        .offset:         16
        .size:           8
        .value_kind:     global_buffer
      - .address_space:  global
        .offset:         24
        .size:           8
        .value_kind:     global_buffer
      - .offset:         32
        .size:           388
        .value_kind:     by_value
      - .offset:         424
        .size:           8
        .value_kind:     by_value
      - .offset:         432
        .size:           8
        .value_kind:     by_value
      - .offset:         440
        .size:           8
        .value_kind:     by_value
      - .offset:         448
        .size:           4
        .value_kind:     hidden_block_count_x
      - .offset:         452
        .size:           4
        .value_kind:     hidden_block_count_y
      - .offset:         456
        .size:           4
        .value_kind:     hidden_block_count_z
      - .offset:         460
        .size:           2
        .value_kind:     hidden_group_size_x
      - .offset:         462
        .size:           2
        .value_kind:     hidden_group_size_y
      - .offset:         464
        .size:           2
        .value_kind:     hidden_group_size_z
      - .offset:         466
        .size:           2
        .value_kind:     hidden_remainder_x
      - .offset:         468
        .size:           2
        .value_kind:     hidden_remainder_y
      - .offset:         470
        .size:           2
        .value_kind:     hidden_remainder_z
      - .offset:         488
        .size:           8
        .value_kind:     hidden_global_offset_x
      - .offset:         496
        .size:           8
        .value_kind:     hidden_global_offset_y
      - .offset:         504
        .size:           8
        .value_kind:     hidden_global_offset_z
      - .offset:         512
        .size:           2
        .value_kind:     hidden_grid_dims
    .group_segment_fixed_size: 0
    .kernarg_segment_align: 8
    .kernarg_segment_size: 704
    .language:       OpenCL C
    .language_version:
      - 2
      - 0
    .max_flat_workgroup_size: 1024
    .name:           _ZN2at6native12cross_kernelId16OffsetCalculatorILi3EjLb0EElEEviPT_PKS4_S7_T0_T1_S9_S9_
    .private_segment_fixed_size: 0
    .sgpr_count:     72
    .sgpr_spill_count: 0
    .symbol:         _ZN2at6native12cross_kernelId16OffsetCalculatorILi3EjLb0EElEEviPT_PKS4_S7_T0_T1_S9_S9_.kd
    .uniform_work_group_size: 1
    .uses_dynamic_stack: false
    .vgpr_count:     28
    .vgpr_spill_count: 0
    .wavefront_size: 64
  - .agpr_count:     0
    .args:
      - .offset:         0
        .size:           4
        .value_kind:     by_value
      - .address_space:  global
        .offset:         8
        .size:           8
        .value_kind:     global_buffer
      - .address_space:  global
        .offset:         16
        .size:           8
        .value_kind:     global_buffer
      - .address_space:  global
        .offset:         24
        .size:           8
        .value_kind:     global_buffer
      - .offset:         32
        .size:           388
        .value_kind:     by_value
      - .offset:         420
        .size:           4
        .value_kind:     by_value
      - .offset:         424
        .size:           4
        .value_kind:     by_value
      - .offset:         428
        .size:           4
        .value_kind:     by_value
      - .offset:         432
        .size:           4
        .value_kind:     hidden_block_count_x
      - .offset:         436
        .size:           4
        .value_kind:     hidden_block_count_y
      - .offset:         440
        .size:           4
        .value_kind:     hidden_block_count_z
      - .offset:         444
        .size:           2
        .value_kind:     hidden_group_size_x
      - .offset:         446
        .size:           2
        .value_kind:     hidden_group_size_y
      - .offset:         448
        .size:           2
        .value_kind:     hidden_group_size_z
      - .offset:         450
        .size:           2
        .value_kind:     hidden_remainder_x
      - .offset:         452
        .size:           2
        .value_kind:     hidden_remainder_y
      - .offset:         454
        .size:           2
        .value_kind:     hidden_remainder_z
      - .offset:         472
        .size:           8
        .value_kind:     hidden_global_offset_x
      - .offset:         480
        .size:           8
        .value_kind:     hidden_global_offset_y
      - .offset:         488
        .size:           8
        .value_kind:     hidden_global_offset_z
      - .offset:         496
        .size:           2
        .value_kind:     hidden_grid_dims
    .group_segment_fixed_size: 0
    .kernarg_segment_align: 8
    .kernarg_segment_size: 688
    .language:       OpenCL C
    .language_version:
      - 2
      - 0
    .max_flat_workgroup_size: 1024
    .name:           _ZN2at6native12cross_kernelId16OffsetCalculatorILi3EjLb0EEiEEviPT_PKS4_S7_T0_T1_S9_S9_
    .private_segment_fixed_size: 0
    .sgpr_count:     72
    .sgpr_spill_count: 0
    .symbol:         _ZN2at6native12cross_kernelId16OffsetCalculatorILi3EjLb0EEiEEviPT_PKS4_S7_T0_T1_S9_S9_.kd
    .uniform_work_group_size: 1
    .uses_dynamic_stack: false
    .vgpr_count:     28
    .vgpr_spill_count: 0
    .wavefront_size: 64
  - .agpr_count:     0
    .args:
      - .offset:         0
        .size:           4
        .value_kind:     by_value
      - .address_space:  global
        .offset:         8
        .size:           8
        .value_kind:     global_buffer
      - .address_space:  global
        .offset:         16
        .size:           8
        .value_kind:     global_buffer
      - .address_space:  global
        .offset:         24
        .size:           8
        .value_kind:     global_buffer
      - .offset:         32
        .size:           388
        .value_kind:     by_value
      - .offset:         424
        .size:           8
        .value_kind:     by_value
      - .offset:         432
        .size:           8
        .value_kind:     by_value
      - .offset:         440
        .size:           8
        .value_kind:     by_value
      - .offset:         448
        .size:           4
        .value_kind:     hidden_block_count_x
      - .offset:         452
        .size:           4
        .value_kind:     hidden_block_count_y
      - .offset:         456
        .size:           4
        .value_kind:     hidden_block_count_z
      - .offset:         460
        .size:           2
        .value_kind:     hidden_group_size_x
      - .offset:         462
        .size:           2
        .value_kind:     hidden_group_size_y
      - .offset:         464
        .size:           2
        .value_kind:     hidden_group_size_z
      - .offset:         466
        .size:           2
        .value_kind:     hidden_remainder_x
      - .offset:         468
        .size:           2
        .value_kind:     hidden_remainder_y
      - .offset:         470
        .size:           2
        .value_kind:     hidden_remainder_z
      - .offset:         488
        .size:           8
        .value_kind:     hidden_global_offset_x
      - .offset:         496
        .size:           8
        .value_kind:     hidden_global_offset_y
      - .offset:         504
        .size:           8
        .value_kind:     hidden_global_offset_z
      - .offset:         512
        .size:           2
        .value_kind:     hidden_grid_dims
    .group_segment_fixed_size: 0
    .kernarg_segment_align: 8
    .kernarg_segment_size: 704
    .language:       OpenCL C
    .language_version:
      - 2
      - 0
    .max_flat_workgroup_size: 1024
    .name:           _ZN2at6native12cross_kernelIf16OffsetCalculatorILi3EjLb0EElEEviPT_PKS4_S7_T0_T1_S9_S9_
    .private_segment_fixed_size: 0
    .sgpr_count:     72
    .sgpr_spill_count: 0
    .symbol:         _ZN2at6native12cross_kernelIf16OffsetCalculatorILi3EjLb0EElEEviPT_PKS4_S7_T0_T1_S9_S9_.kd
    .uniform_work_group_size: 1
    .uses_dynamic_stack: false
    .vgpr_count:     18
    .vgpr_spill_count: 0
    .wavefront_size: 64
  - .agpr_count:     0
    .args:
      - .offset:         0
        .size:           4
        .value_kind:     by_value
      - .address_space:  global
        .offset:         8
        .size:           8
        .value_kind:     global_buffer
      - .address_space:  global
        .offset:         16
        .size:           8
        .value_kind:     global_buffer
      - .address_space:  global
        .offset:         24
        .size:           8
        .value_kind:     global_buffer
      - .offset:         32
        .size:           388
        .value_kind:     by_value
      - .offset:         420
        .size:           4
        .value_kind:     by_value
      - .offset:         424
        .size:           4
        .value_kind:     by_value
      - .offset:         428
        .size:           4
        .value_kind:     by_value
      - .offset:         432
        .size:           4
        .value_kind:     hidden_block_count_x
      - .offset:         436
        .size:           4
        .value_kind:     hidden_block_count_y
      - .offset:         440
        .size:           4
        .value_kind:     hidden_block_count_z
      - .offset:         444
        .size:           2
        .value_kind:     hidden_group_size_x
      - .offset:         446
        .size:           2
        .value_kind:     hidden_group_size_y
      - .offset:         448
        .size:           2
        .value_kind:     hidden_group_size_z
      - .offset:         450
        .size:           2
        .value_kind:     hidden_remainder_x
      - .offset:         452
        .size:           2
        .value_kind:     hidden_remainder_y
      - .offset:         454
        .size:           2
        .value_kind:     hidden_remainder_z
      - .offset:         472
        .size:           8
        .value_kind:     hidden_global_offset_x
      - .offset:         480
        .size:           8
        .value_kind:     hidden_global_offset_y
      - .offset:         488
        .size:           8
        .value_kind:     hidden_global_offset_z
      - .offset:         496
        .size:           2
        .value_kind:     hidden_grid_dims
    .group_segment_fixed_size: 0
    .kernarg_segment_align: 8
    .kernarg_segment_size: 688
    .language:       OpenCL C
    .language_version:
      - 2
      - 0
    .max_flat_workgroup_size: 1024
    .name:           _ZN2at6native12cross_kernelIf16OffsetCalculatorILi3EjLb0EEiEEviPT_PKS4_S7_T0_T1_S9_S9_
    .private_segment_fixed_size: 0
    .sgpr_count:     72
    .sgpr_spill_count: 0
    .symbol:         _ZN2at6native12cross_kernelIf16OffsetCalculatorILi3EjLb0EEiEEviPT_PKS4_S7_T0_T1_S9_S9_.kd
    .uniform_work_group_size: 1
    .uses_dynamic_stack: false
    .vgpr_count:     18
    .vgpr_spill_count: 0
    .wavefront_size: 64
  - .agpr_count:     0
    .args:
      - .offset:         0
        .size:           4
        .value_kind:     by_value
      - .address_space:  global
        .offset:         8
        .size:           8
        .value_kind:     global_buffer
      - .address_space:  global
        .offset:         16
        .size:           8
        .value_kind:     global_buffer
      - .address_space:  global
        .offset:         24
        .size:           8
        .value_kind:     global_buffer
      - .offset:         32
        .size:           388
        .value_kind:     by_value
      - .offset:         424
        .size:           8
        .value_kind:     by_value
      - .offset:         432
        .size:           8
        .value_kind:     by_value
      - .offset:         440
        .size:           8
        .value_kind:     by_value
      - .offset:         448
        .size:           4
        .value_kind:     hidden_block_count_x
      - .offset:         452
        .size:           4
        .value_kind:     hidden_block_count_y
      - .offset:         456
        .size:           4
        .value_kind:     hidden_block_count_z
      - .offset:         460
        .size:           2
        .value_kind:     hidden_group_size_x
      - .offset:         462
        .size:           2
        .value_kind:     hidden_group_size_y
      - .offset:         464
        .size:           2
        .value_kind:     hidden_group_size_z
      - .offset:         466
        .size:           2
        .value_kind:     hidden_remainder_x
      - .offset:         468
        .size:           2
        .value_kind:     hidden_remainder_y
      - .offset:         470
        .size:           2
        .value_kind:     hidden_remainder_z
      - .offset:         488
        .size:           8
        .value_kind:     hidden_global_offset_x
      - .offset:         496
        .size:           8
        .value_kind:     hidden_global_offset_y
      - .offset:         504
        .size:           8
        .value_kind:     hidden_global_offset_z
      - .offset:         512
        .size:           2
        .value_kind:     hidden_grid_dims
    .group_segment_fixed_size: 0
    .kernarg_segment_align: 8
    .kernarg_segment_size: 704
    .language:       OpenCL C
    .language_version:
      - 2
      - 0
    .max_flat_workgroup_size: 1024
    .name:           _ZN2at6native12cross_kernelIN3c107complexIdEE16OffsetCalculatorILi3EjLb0EElEEviPT_PKS7_SA_T0_T1_SC_SC_
    .private_segment_fixed_size: 0
    .sgpr_count:     72
    .sgpr_spill_count: 0
    .symbol:         _ZN2at6native12cross_kernelIN3c107complexIdEE16OffsetCalculatorILi3EjLb0EElEEviPT_PKS7_SA_T0_T1_SC_SC_.kd
    .uniform_work_group_size: 1
    .uses_dynamic_stack: false
    .vgpr_count:     52
    .vgpr_spill_count: 0
    .wavefront_size: 64
  - .agpr_count:     0
    .args:
      - .offset:         0
        .size:           4
        .value_kind:     by_value
      - .address_space:  global
        .offset:         8
        .size:           8
        .value_kind:     global_buffer
      - .address_space:  global
        .offset:         16
        .size:           8
        .value_kind:     global_buffer
      - .address_space:  global
        .offset:         24
        .size:           8
        .value_kind:     global_buffer
      - .offset:         32
        .size:           388
        .value_kind:     by_value
      - .offset:         420
        .size:           4
        .value_kind:     by_value
      - .offset:         424
        .size:           4
        .value_kind:     by_value
      - .offset:         428
        .size:           4
        .value_kind:     by_value
      - .offset:         432
        .size:           4
        .value_kind:     hidden_block_count_x
      - .offset:         436
        .size:           4
        .value_kind:     hidden_block_count_y
      - .offset:         440
        .size:           4
        .value_kind:     hidden_block_count_z
      - .offset:         444
        .size:           2
        .value_kind:     hidden_group_size_x
      - .offset:         446
        .size:           2
        .value_kind:     hidden_group_size_y
      - .offset:         448
        .size:           2
        .value_kind:     hidden_group_size_z
      - .offset:         450
        .size:           2
        .value_kind:     hidden_remainder_x
      - .offset:         452
        .size:           2
        .value_kind:     hidden_remainder_y
      - .offset:         454
        .size:           2
        .value_kind:     hidden_remainder_z
      - .offset:         472
        .size:           8
        .value_kind:     hidden_global_offset_x
      - .offset:         480
        .size:           8
        .value_kind:     hidden_global_offset_y
      - .offset:         488
        .size:           8
        .value_kind:     hidden_global_offset_z
      - .offset:         496
        .size:           2
        .value_kind:     hidden_grid_dims
    .group_segment_fixed_size: 0
    .kernarg_segment_align: 8
    .kernarg_segment_size: 688
    .language:       OpenCL C
    .language_version:
      - 2
      - 0
    .max_flat_workgroup_size: 1024
    .name:           _ZN2at6native12cross_kernelIN3c107complexIdEE16OffsetCalculatorILi3EjLb0EEiEEviPT_PKS7_SA_T0_T1_SC_SC_
    .private_segment_fixed_size: 0
    .sgpr_count:     72
    .sgpr_spill_count: 0
    .symbol:         _ZN2at6native12cross_kernelIN3c107complexIdEE16OffsetCalculatorILi3EjLb0EEiEEviPT_PKS7_SA_T0_T1_SC_SC_.kd
    .uniform_work_group_size: 1
    .uses_dynamic_stack: false
    .vgpr_count:     52
    .vgpr_spill_count: 0
    .wavefront_size: 64
  - .agpr_count:     0
    .args:
      - .offset:         0
        .size:           4
        .value_kind:     by_value
      - .address_space:  global
        .offset:         8
        .size:           8
        .value_kind:     global_buffer
      - .address_space:  global
        .offset:         16
        .size:           8
        .value_kind:     global_buffer
      - .address_space:  global
        .offset:         24
        .size:           8
        .value_kind:     global_buffer
      - .offset:         32
        .size:           388
        .value_kind:     by_value
      - .offset:         424
        .size:           8
        .value_kind:     by_value
      - .offset:         432
        .size:           8
        .value_kind:     by_value
      - .offset:         440
        .size:           8
        .value_kind:     by_value
      - .offset:         448
        .size:           4
        .value_kind:     hidden_block_count_x
      - .offset:         452
        .size:           4
        .value_kind:     hidden_block_count_y
      - .offset:         456
        .size:           4
        .value_kind:     hidden_block_count_z
      - .offset:         460
        .size:           2
        .value_kind:     hidden_group_size_x
      - .offset:         462
        .size:           2
        .value_kind:     hidden_group_size_y
      - .offset:         464
        .size:           2
        .value_kind:     hidden_group_size_z
      - .offset:         466
        .size:           2
        .value_kind:     hidden_remainder_x
      - .offset:         468
        .size:           2
        .value_kind:     hidden_remainder_y
      - .offset:         470
        .size:           2
        .value_kind:     hidden_remainder_z
      - .offset:         488
        .size:           8
        .value_kind:     hidden_global_offset_x
      - .offset:         496
        .size:           8
        .value_kind:     hidden_global_offset_y
      - .offset:         504
        .size:           8
        .value_kind:     hidden_global_offset_z
      - .offset:         512
        .size:           2
        .value_kind:     hidden_grid_dims
    .group_segment_fixed_size: 0
    .kernarg_segment_align: 8
    .kernarg_segment_size: 704
    .language:       OpenCL C
    .language_version:
      - 2
      - 0
    .max_flat_workgroup_size: 1024
    .name:           _ZN2at6native12cross_kernelIN3c107complexIfEE16OffsetCalculatorILi3EjLb0EElEEviPT_PKS7_SA_T0_T1_SC_SC_
    .private_segment_fixed_size: 0
    .sgpr_count:     72
    .sgpr_spill_count: 0
    .symbol:         _ZN2at6native12cross_kernelIN3c107complexIfEE16OffsetCalculatorILi3EjLb0EElEEviPT_PKS7_SA_T0_T1_SC_SC_.kd
    .uniform_work_group_size: 1
    .uses_dynamic_stack: false
    .vgpr_count:     30
    .vgpr_spill_count: 0
    .wavefront_size: 64
  - .agpr_count:     0
    .args:
      - .offset:         0
        .size:           4
        .value_kind:     by_value
      - .address_space:  global
        .offset:         8
        .size:           8
        .value_kind:     global_buffer
      - .address_space:  global
        .offset:         16
        .size:           8
        .value_kind:     global_buffer
      - .address_space:  global
        .offset:         24
        .size:           8
        .value_kind:     global_buffer
      - .offset:         32
        .size:           388
        .value_kind:     by_value
      - .offset:         420
        .size:           4
        .value_kind:     by_value
      - .offset:         424
        .size:           4
        .value_kind:     by_value
      - .offset:         428
        .size:           4
        .value_kind:     by_value
      - .offset:         432
        .size:           4
        .value_kind:     hidden_block_count_x
      - .offset:         436
        .size:           4
        .value_kind:     hidden_block_count_y
      - .offset:         440
        .size:           4
        .value_kind:     hidden_block_count_z
      - .offset:         444
        .size:           2
        .value_kind:     hidden_group_size_x
      - .offset:         446
        .size:           2
        .value_kind:     hidden_group_size_y
      - .offset:         448
        .size:           2
        .value_kind:     hidden_group_size_z
      - .offset:         450
        .size:           2
        .value_kind:     hidden_remainder_x
      - .offset:         452
        .size:           2
        .value_kind:     hidden_remainder_y
      - .offset:         454
        .size:           2
        .value_kind:     hidden_remainder_z
      - .offset:         472
        .size:           8
        .value_kind:     hidden_global_offset_x
      - .offset:         480
        .size:           8
        .value_kind:     hidden_global_offset_y
      - .offset:         488
        .size:           8
        .value_kind:     hidden_global_offset_z
      - .offset:         496
        .size:           2
        .value_kind:     hidden_grid_dims
    .group_segment_fixed_size: 0
    .kernarg_segment_align: 8
    .kernarg_segment_size: 688
    .language:       OpenCL C
    .language_version:
      - 2
      - 0
    .max_flat_workgroup_size: 1024
    .name:           _ZN2at6native12cross_kernelIN3c107complexIfEE16OffsetCalculatorILi3EjLb0EEiEEviPT_PKS7_SA_T0_T1_SC_SC_
    .private_segment_fixed_size: 0
    .sgpr_count:     72
    .sgpr_spill_count: 0
    .symbol:         _ZN2at6native12cross_kernelIN3c107complexIfEE16OffsetCalculatorILi3EjLb0EEiEEviPT_PKS7_SA_T0_T1_SC_SC_.kd
    .uniform_work_group_size: 1
    .uses_dynamic_stack: false
    .vgpr_count:     30
    .vgpr_spill_count: 0
    .wavefront_size: 64
  - .agpr_count:     0
    .args:
      - .offset:         0
        .size:           4
        .value_kind:     by_value
      - .address_space:  global
        .offset:         8
        .size:           8
        .value_kind:     global_buffer
      - .address_space:  global
        .offset:         16
        .size:           8
        .value_kind:     global_buffer
      - .address_space:  global
        .offset:         24
        .size:           8
        .value_kind:     global_buffer
      - .offset:         32
        .size:           388
        .value_kind:     by_value
      - .offset:         424
        .size:           8
        .value_kind:     by_value
      - .offset:         432
        .size:           8
        .value_kind:     by_value
      - .offset:         440
        .size:           8
        .value_kind:     by_value
      - .offset:         448
        .size:           4
        .value_kind:     hidden_block_count_x
      - .offset:         452
        .size:           4
        .value_kind:     hidden_block_count_y
      - .offset:         456
        .size:           4
        .value_kind:     hidden_block_count_z
      - .offset:         460
        .size:           2
        .value_kind:     hidden_group_size_x
      - .offset:         462
        .size:           2
        .value_kind:     hidden_group_size_y
      - .offset:         464
        .size:           2
        .value_kind:     hidden_group_size_z
      - .offset:         466
        .size:           2
        .value_kind:     hidden_remainder_x
      - .offset:         468
        .size:           2
        .value_kind:     hidden_remainder_y
      - .offset:         470
        .size:           2
        .value_kind:     hidden_remainder_z
      - .offset:         488
        .size:           8
        .value_kind:     hidden_global_offset_x
      - .offset:         496
        .size:           8
        .value_kind:     hidden_global_offset_y
      - .offset:         504
        .size:           8
        .value_kind:     hidden_global_offset_z
      - .offset:         512
        .size:           2
        .value_kind:     hidden_grid_dims
    .group_segment_fixed_size: 0
    .kernarg_segment_align: 8
    .kernarg_segment_size: 704
    .language:       OpenCL C
    .language_version:
      - 2
      - 0
    .max_flat_workgroup_size: 1024
    .name:           _ZN2at6native12cross_kernelIN3c104HalfE16OffsetCalculatorILi3EjLb0EElEEviPT_PKS6_S9_T0_T1_SB_SB_
    .private_segment_fixed_size: 0
    .sgpr_count:     72
    .sgpr_spill_count: 0
    .symbol:         _ZN2at6native12cross_kernelIN3c104HalfE16OffsetCalculatorILi3EjLb0EElEEviPT_PKS6_S9_T0_T1_SB_SB_.kd
    .uniform_work_group_size: 1
    .uses_dynamic_stack: false
    .vgpr_count:     18
    .vgpr_spill_count: 0
    .wavefront_size: 64
  - .agpr_count:     0
    .args:
      - .offset:         0
        .size:           4
        .value_kind:     by_value
      - .address_space:  global
        .offset:         8
        .size:           8
        .value_kind:     global_buffer
      - .address_space:  global
        .offset:         16
        .size:           8
        .value_kind:     global_buffer
      - .address_space:  global
        .offset:         24
        .size:           8
        .value_kind:     global_buffer
      - .offset:         32
        .size:           388
        .value_kind:     by_value
      - .offset:         420
        .size:           4
        .value_kind:     by_value
      - .offset:         424
        .size:           4
        .value_kind:     by_value
      - .offset:         428
        .size:           4
        .value_kind:     by_value
      - .offset:         432
        .size:           4
        .value_kind:     hidden_block_count_x
      - .offset:         436
        .size:           4
        .value_kind:     hidden_block_count_y
      - .offset:         440
        .size:           4
        .value_kind:     hidden_block_count_z
      - .offset:         444
        .size:           2
        .value_kind:     hidden_group_size_x
      - .offset:         446
        .size:           2
        .value_kind:     hidden_group_size_y
      - .offset:         448
        .size:           2
        .value_kind:     hidden_group_size_z
      - .offset:         450
        .size:           2
        .value_kind:     hidden_remainder_x
      - .offset:         452
        .size:           2
        .value_kind:     hidden_remainder_y
      - .offset:         454
        .size:           2
        .value_kind:     hidden_remainder_z
      - .offset:         472
        .size:           8
        .value_kind:     hidden_global_offset_x
      - .offset:         480
        .size:           8
        .value_kind:     hidden_global_offset_y
      - .offset:         488
        .size:           8
        .value_kind:     hidden_global_offset_z
      - .offset:         496
        .size:           2
        .value_kind:     hidden_grid_dims
    .group_segment_fixed_size: 0
    .kernarg_segment_align: 8
    .kernarg_segment_size: 688
    .language:       OpenCL C
    .language_version:
      - 2
      - 0
    .max_flat_workgroup_size: 1024
    .name:           _ZN2at6native12cross_kernelIN3c104HalfE16OffsetCalculatorILi3EjLb0EEiEEviPT_PKS6_S9_T0_T1_SB_SB_
    .private_segment_fixed_size: 0
    .sgpr_count:     72
    .sgpr_spill_count: 0
    .symbol:         _ZN2at6native12cross_kernelIN3c104HalfE16OffsetCalculatorILi3EjLb0EEiEEviPT_PKS6_S9_T0_T1_SB_SB_.kd
    .uniform_work_group_size: 1
    .uses_dynamic_stack: false
    .vgpr_count:     18
    .vgpr_spill_count: 0
    .wavefront_size: 64
  - .agpr_count:     0
    .args:
      - .offset:         0
        .size:           4
        .value_kind:     by_value
      - .address_space:  global
        .offset:         8
        .size:           8
        .value_kind:     global_buffer
      - .address_space:  global
        .offset:         16
        .size:           8
        .value_kind:     global_buffer
      - .address_space:  global
        .offset:         24
        .size:           8
        .value_kind:     global_buffer
      - .offset:         32
        .size:           388
        .value_kind:     by_value
      - .offset:         424
        .size:           8
        .value_kind:     by_value
      - .offset:         432
        .size:           8
        .value_kind:     by_value
      - .offset:         440
        .size:           8
        .value_kind:     by_value
      - .offset:         448
        .size:           4
        .value_kind:     hidden_block_count_x
      - .offset:         452
        .size:           4
        .value_kind:     hidden_block_count_y
      - .offset:         456
        .size:           4
        .value_kind:     hidden_block_count_z
      - .offset:         460
        .size:           2
        .value_kind:     hidden_group_size_x
      - .offset:         462
        .size:           2
        .value_kind:     hidden_group_size_y
      - .offset:         464
        .size:           2
        .value_kind:     hidden_group_size_z
      - .offset:         466
        .size:           2
        .value_kind:     hidden_remainder_x
      - .offset:         468
        .size:           2
        .value_kind:     hidden_remainder_y
      - .offset:         470
        .size:           2
        .value_kind:     hidden_remainder_z
      - .offset:         488
        .size:           8
        .value_kind:     hidden_global_offset_x
      - .offset:         496
        .size:           8
        .value_kind:     hidden_global_offset_y
      - .offset:         504
        .size:           8
        .value_kind:     hidden_global_offset_z
      - .offset:         512
        .size:           2
        .value_kind:     hidden_grid_dims
    .group_segment_fixed_size: 0
    .kernarg_segment_align: 8
    .kernarg_segment_size: 704
    .language:       OpenCL C
    .language_version:
      - 2
      - 0
    .max_flat_workgroup_size: 1024
    .name:           _ZN2at6native12cross_kernelIN3c108BFloat16E16OffsetCalculatorILi3EjLb0EElEEviPT_PKS6_S9_T0_T1_SB_SB_
    .private_segment_fixed_size: 0
    .sgpr_count:     72
    .sgpr_spill_count: 0
    .symbol:         _ZN2at6native12cross_kernelIN3c108BFloat16E16OffsetCalculatorILi3EjLb0EElEEviPT_PKS6_S9_T0_T1_SB_SB_.kd
    .uniform_work_group_size: 1
    .uses_dynamic_stack: false
    .vgpr_count:     23
    .vgpr_spill_count: 0
    .wavefront_size: 64
  - .agpr_count:     0
    .args:
      - .offset:         0
        .size:           4
        .value_kind:     by_value
      - .address_space:  global
        .offset:         8
        .size:           8
        .value_kind:     global_buffer
      - .address_space:  global
        .offset:         16
        .size:           8
        .value_kind:     global_buffer
      - .address_space:  global
        .offset:         24
        .size:           8
        .value_kind:     global_buffer
      - .offset:         32
        .size:           388
        .value_kind:     by_value
      - .offset:         420
        .size:           4
        .value_kind:     by_value
      - .offset:         424
        .size:           4
        .value_kind:     by_value
      - .offset:         428
        .size:           4
        .value_kind:     by_value
      - .offset:         432
        .size:           4
        .value_kind:     hidden_block_count_x
      - .offset:         436
        .size:           4
        .value_kind:     hidden_block_count_y
      - .offset:         440
        .size:           4
        .value_kind:     hidden_block_count_z
      - .offset:         444
        .size:           2
        .value_kind:     hidden_group_size_x
      - .offset:         446
        .size:           2
        .value_kind:     hidden_group_size_y
      - .offset:         448
        .size:           2
        .value_kind:     hidden_group_size_z
      - .offset:         450
        .size:           2
        .value_kind:     hidden_remainder_x
      - .offset:         452
        .size:           2
        .value_kind:     hidden_remainder_y
      - .offset:         454
        .size:           2
        .value_kind:     hidden_remainder_z
      - .offset:         472
        .size:           8
        .value_kind:     hidden_global_offset_x
      - .offset:         480
        .size:           8
        .value_kind:     hidden_global_offset_y
      - .offset:         488
        .size:           8
        .value_kind:     hidden_global_offset_z
      - .offset:         496
        .size:           2
        .value_kind:     hidden_grid_dims
    .group_segment_fixed_size: 0
    .kernarg_segment_align: 8
    .kernarg_segment_size: 688
    .language:       OpenCL C
    .language_version:
      - 2
      - 0
    .max_flat_workgroup_size: 1024
    .name:           _ZN2at6native12cross_kernelIN3c108BFloat16E16OffsetCalculatorILi3EjLb0EEiEEviPT_PKS6_S9_T0_T1_SB_SB_
    .private_segment_fixed_size: 0
    .sgpr_count:     72
    .sgpr_spill_count: 0
    .symbol:         _ZN2at6native12cross_kernelIN3c108BFloat16E16OffsetCalculatorILi3EjLb0EEiEEviPT_PKS6_S9_T0_T1_SB_SB_.kd
    .uniform_work_group_size: 1
    .uses_dynamic_stack: false
    .vgpr_count:     23
    .vgpr_spill_count: 0
    .wavefront_size: 64
amdhsa.target:   amdgcn-amd-amdhsa--gfx942
amdhsa.version:
  - 1
  - 2
...

	.end_amdgpu_metadata
